;; amdgpu-corpus repo=zjin-lcf/HeCBench kind=compiled arch=gfx1100 opt=O3
	.text
	.amdgcn_target "amdgcn-amd-amdhsa--gfx1100"
	.amdhsa_code_object_version 6
	.protected	_Z19selective_scan_basePKfS0_S0_S0_S0_S0_S0_S0_biiiiPfS1_ ; -- Begin function _Z19selective_scan_basePKfS0_S0_S0_S0_S0_S0_S0_biiiiPfS1_
	.globl	_Z19selective_scan_basePKfS0_S0_S0_S0_S0_S0_S0_biiiiPfS1_
	.p2align	8
	.type	_Z19selective_scan_basePKfS0_S0_S0_S0_S0_S0_S0_biiiiPfS1_,@function
_Z19selective_scan_basePKfS0_S0_S0_S0_S0_S0_S0_biiiiPfS1_: ; @_Z19selective_scan_basePKfS0_S0_S0_S0_S0_S0_S0_biiiiPfS1_
; %bb.0:
	s_clause 0x1
	s_load_b32 s2, s[0:1], 0x74
	s_load_b128 s[24:27], s[0:1], 0x40
	s_waitcnt lgkmcnt(0)
	s_and_b32 s2, s2, 0xffff
	s_cmp_lt_i32 s14, s25
	v_mad_u64_u32 v[8:9], null, s15, s2, v[0:1]
	s_cselect_b32 s2, -1, 0
	s_delay_alu instid0(VALU_DEP_1) | instskip(SKIP_1) | instid1(SALU_CYCLE_1)
	v_cmp_gt_i32_e32 vcc_lo, s26, v8
	s_and_b32 s2, s2, vcc_lo
	s_and_saveexec_b32 s3, s2
	s_cbranch_execz .LBB0_16
; %bb.1:
	s_load_b256 s[4:11], s[0:1], 0x20
	v_ashrrev_i32_e32 v9, 31, v8
	s_cmp_gt_i32 s27, 0
	s_delay_alu instid0(VALU_DEP_1) | instskip(SKIP_1) | instid1(VALU_DEP_1)
	v_lshlrev_b64 v[0:1], 2, v[8:9]
	s_waitcnt lgkmcnt(0)
	v_add_co_u32 v2, vcc_lo, s8, v0
	s_delay_alu instid0(VALU_DEP_2)
	v_add_co_ci_u32_e32 v3, vcc_lo, s9, v1, vcc_lo
	v_add_co_u32 v0, vcc_lo, s6, v0
	v_add_co_ci_u32_e32 v1, vcc_lo, s7, v1, vcc_lo
	s_cselect_b32 s8, -1, 0
	global_load_b32 v15, v[2:3], off
	global_load_b32 v16, v[0:1], off
	s_clause 0x2
	s_load_b256 s[16:23], s[0:1], 0x0
	s_load_b128 s[28:31], s[0:1], 0x58
	s_load_b32 s9, s[0:1], 0x50
	s_cmp_lt_i32 s27, 1
	s_cbranch_scc1 .LBB0_5
; %bb.2:
	v_mad_u64_u32 v[0:1], null, s14, s26, v[8:9]
	s_mov_b64 s[0:1], 0
	s_delay_alu instid0(VALU_DEP_1) | instskip(NEXT) | instid1(VALU_DEP_1)
	v_mul_lo_u32 v0, v0, s27
	v_ashrrev_i32_e32 v1, 31, v0
	s_delay_alu instid0(VALU_DEP_1) | instskip(SKIP_1) | instid1(VALU_DEP_1)
	v_lshlrev_b64 v[0:1], 2, v[0:1]
	s_waitcnt lgkmcnt(0)
	v_add_co_u32 v9, vcc_lo, s28, v0
	s_delay_alu instid0(VALU_DEP_2)
	v_add_co_ci_u32_e32 v10, vcc_lo, s29, v1, vcc_lo
                                        ; implicit-def: $vgpr0
.LBB0_3:                                ; =>This Inner Loop Header: Depth=1
	global_load_b32 v11, v[9:10], off
	v_add_co_u32 v9, vcc_lo, v9, 4
	v_add_co_ci_u32_e32 v10, vcc_lo, 0, v10, vcc_lo
	s_mov_b32 m0, s0
	s_add_u32 s0, s0, 1
	s_addc_u32 s1, s1, 0
	s_cmp_eq_u32 s27, s0
	s_waitcnt vmcnt(0)
	v_movreld_b32_e32 v0, v11
	s_cbranch_scc0 .LBB0_3
; %bb.4:
	s_cmp_lt_i32 s9, 1
	s_cbranch_scc0 .LBB0_6
	s_branch .LBB0_13
.LBB0_5:
                                        ; implicit-def: $vgpr0_vgpr1_vgpr2_vgpr3_vgpr4_vgpr5_vgpr6_vgpr7
	s_waitcnt lgkmcnt(0)
	s_cmp_lt_i32 s9, 1
	s_cbranch_scc1 .LBB0_13
.LBB0_6:
	v_mul_lo_u32 v9, v8, s27
	s_bitcmp1_b32 s24, 0
	s_mul_i32 s2, s14, s9
	s_cselect_b32 s0, -1, 0
	s_cmp_lg_u64 s[10:11], 0
	s_mul_i32 s12, s2, s27
	s_cselect_b32 s1, -1, 0
	s_mov_b32 s13, 0
	v_ashrrev_i32_e32 v10, 31, v9
	v_mad_u64_u32 v[11:12], null, s14, s26, v[8:9]
	s_delay_alu instid0(VALU_DEP_2) | instskip(NEXT) | instid1(VALU_DEP_2)
	v_lshlrev_b64 v[9:10], 2, v[9:10]
	v_mul_lo_u32 v17, v11, s9
	s_delay_alu instid0(VALU_DEP_2) | instskip(NEXT) | instid1(VALU_DEP_3)
	v_add_co_u32 v9, vcc_lo, s20, v9
	v_add_co_ci_u32_e32 v10, vcc_lo, s21, v10, vcc_lo
	s_branch .LBB0_8
.LBB0_7:                                ;   in Loop: Header=BB0_8 Depth=1
	v_add_co_u32 v11, vcc_lo, s30, v11
	v_add_co_ci_u32_e32 v12, vcc_lo, s31, v12, vcc_lo
	s_add_i32 s13, s13, 1
	s_add_i32 s12, s12, 1
	s_cmp_eq_u32 s13, s9
	global_store_b32 v[11:12], v18, off
	s_cbranch_scc1 .LBB0_13
.LBB0_8:                                ; =>This Loop Header: Depth=1
                                        ;     Child Loop BB0_10 Depth 2
	s_delay_alu instid0(VALU_DEP_3) | instskip(NEXT) | instid1(VALU_DEP_1)
	v_add_nc_u32_e32 v11, s13, v17
	v_ashrrev_i32_e32 v12, 31, v11
	s_delay_alu instid0(VALU_DEP_1) | instskip(NEXT) | instid1(VALU_DEP_1)
	v_lshlrev_b64 v[11:12], 2, v[11:12]
	v_add_co_u32 v13, vcc_lo, s16, v11
	s_delay_alu instid0(VALU_DEP_2)
	v_add_co_ci_u32_e32 v14, vcc_lo, s17, v12, vcc_lo
	s_and_not1_b32 vcc_lo, exec_lo, s8
	global_load_b32 v19, v[13:14], off
	s_waitcnt vmcnt(0)
	v_mul_f32_e32 v18, v16, v19
	s_cbranch_vccnz .LBB0_11
; %bb.9:                                ;   in Loop: Header=BB0_8 Depth=1
	v_add_co_u32 v13, vcc_lo, s18, v11
	v_add_co_ci_u32_e32 v14, vcc_lo, s19, v12, vcc_lo
	s_mov_b64 s[2:3], 0
	s_mov_b32 s6, s12
	global_load_b32 v13, v[13:14], off
	s_waitcnt vmcnt(0)
	v_add_f32_e32 v13, v15, v13
	s_delay_alu instid0(VALU_DEP_1) | instskip(NEXT) | instid1(VALU_DEP_1)
	v_mul_f32_e32 v14, 0x3fb8aa3b, v13
	v_exp_f32_e32 v14, v14
	s_waitcnt_depctr 0xfff
	v_add_f32_e32 v14, 1.0, v14
	s_delay_alu instid0(VALU_DEP_1) | instskip(SKIP_2) | instid1(VALU_DEP_2)
	v_cmp_gt_f32_e32 vcc_lo, 0x800000, v14
	v_cndmask_b32_e64 v20, 1.0, 0x4f800000, vcc_lo
	v_cndmask_b32_e64 v21, 0, 0x41b17218, vcc_lo
	v_mul_f32_e32 v14, v14, v20
	s_delay_alu instid0(VALU_DEP_1) | instskip(SKIP_3) | instid1(VALU_DEP_2)
	v_log_f32_e32 v14, v14
	s_waitcnt_depctr 0xfff
	v_mul_f32_e32 v20, 0x3f317217, v14
	v_cmp_gt_f32_e64 vcc_lo, 0x7f800000, |v14|
	v_fma_f32 v20, 0x3f317217, v14, -v20
	s_delay_alu instid0(VALU_DEP_1) | instskip(NEXT) | instid1(VALU_DEP_1)
	v_fmac_f32_e32 v20, 0x3377d1cf, v14
	v_fmac_f32_e32 v20, 0x3f317217, v14
	s_delay_alu instid0(VALU_DEP_1) | instskip(SKIP_1) | instid1(VALU_DEP_2)
	v_cndmask_b32_e32 v14, v14, v20, vcc_lo
	v_cmp_lt_f32_e32 vcc_lo, 0x41a00000, v13
	v_sub_f32_e32 v14, v14, v21
	s_delay_alu instid0(VALU_DEP_1) | instskip(NEXT) | instid1(VALU_DEP_1)
	v_cndmask_b32_e32 v14, v14, v13, vcc_lo
	v_cndmask_b32_e64 v20, v13, v14, s0
	v_dual_mov_b32 v14, v10 :: v_dual_mov_b32 v13, v9
	.p2align	6
.LBB0_10:                               ;   Parent Loop BB0_8 Depth=1
                                        ; =>  This Inner Loop Header: Depth=2
	global_load_b32 v21, v[13:14], off
	s_ashr_i32 s7, s6, 31
	s_mov_b32 m0, s2
	s_lshl_b64 s[20:21], s[6:7], 2
	v_movrels_b32_e32 v22, v0
	s_add_u32 s24, s22, s20
	s_addc_u32 s25, s23, s21
	s_add_u32 s20, s4, s20
	s_load_b32 s7, s[24:25], 0x0
	s_addc_u32 s21, s5, s21
	v_add_co_u32 v13, vcc_lo, v13, 4
	v_add_co_ci_u32_e32 v14, vcc_lo, 0, v14, vcc_lo
	s_add_u32 s2, s2, 1
	s_addc_u32 s3, s3, 0
	s_add_i32 s6, s6, s9
	s_cmp_eq_u32 s27, s2
	s_waitcnt lgkmcnt(0)
	v_mul_f32_e32 v23, s7, v20
	s_load_b32 s7, s[20:21], 0x0
	s_waitcnt vmcnt(0)
	v_mul_f32_e32 v21, v20, v21
	s_delay_alu instid0(VALU_DEP_1) | instskip(NEXT) | instid1(VALU_DEP_1)
	v_mul_f32_e32 v21, 0x3fb8aa3b, v21
	v_exp_f32_e32 v21, v21
	s_waitcnt_depctr 0xfff
	v_mul_f32_e32 v21, v22, v21
	s_delay_alu instid0(VALU_DEP_1) | instskip(SKIP_1) | instid1(VALU_DEP_1)
	v_fmac_f32_e32 v21, v19, v23
	s_waitcnt lgkmcnt(0)
	v_fmac_f32_e32 v18, s7, v21
	v_movreld_b32_e32 v0, v21
	s_cbranch_scc0 .LBB0_10
.LBB0_11:                               ;   in Loop: Header=BB0_8 Depth=1
	s_and_b32 vcc_lo, exec_lo, s1
	s_cbranch_vccz .LBB0_7
; %bb.12:                               ;   in Loop: Header=BB0_8 Depth=1
	v_add_co_u32 v13, vcc_lo, s10, v11
	v_add_co_ci_u32_e32 v14, vcc_lo, s11, v12, vcc_lo
	global_load_b32 v13, v[13:14], off
	s_waitcnt vmcnt(0)
	v_mul_f32_e32 v14, 0xbfb8aa3b, v13
	s_delay_alu instid0(VALU_DEP_1) | instskip(SKIP_2) | instid1(VALU_DEP_1)
	v_exp_f32_e32 v14, v14
	s_waitcnt_depctr 0xfff
	v_add_f32_e32 v14, 1.0, v14
	v_div_scale_f32 v19, null, v14, v14, v13
	s_delay_alu instid0(VALU_DEP_1) | instskip(SKIP_2) | instid1(VALU_DEP_1)
	v_rcp_f32_e32 v20, v19
	s_waitcnt_depctr 0xfff
	v_fma_f32 v21, -v19, v20, 1.0
	v_fmac_f32_e32 v20, v21, v20
	v_div_scale_f32 v21, vcc_lo, v13, v14, v13
	s_delay_alu instid0(VALU_DEP_1) | instskip(NEXT) | instid1(VALU_DEP_1)
	v_mul_f32_e32 v22, v21, v20
	v_fma_f32 v23, -v19, v22, v21
	s_delay_alu instid0(VALU_DEP_1) | instskip(NEXT) | instid1(VALU_DEP_1)
	v_fmac_f32_e32 v22, v23, v20
	v_fma_f32 v19, -v19, v22, v21
	s_delay_alu instid0(VALU_DEP_1) | instskip(NEXT) | instid1(VALU_DEP_1)
	v_div_fmas_f32 v19, v19, v20, v22
	v_div_fixup_f32 v13, v19, v14, v13
	s_delay_alu instid0(VALU_DEP_1)
	v_mul_f32_e32 v18, v18, v13
	s_branch .LBB0_7
.LBB0_13:
	s_and_not1_b32 vcc_lo, exec_lo, s8
	s_cbranch_vccnz .LBB0_16
; %bb.14:
	v_mad_u64_u32 v[9:10], null, s14, s26, v[8:9]
	s_mov_b64 s[0:1], 0
	s_delay_alu instid0(VALU_DEP_1) | instskip(NEXT) | instid1(VALU_DEP_1)
	v_mul_lo_u32 v8, v9, s27
	v_ashrrev_i32_e32 v9, 31, v8
	s_delay_alu instid0(VALU_DEP_1) | instskip(NEXT) | instid1(VALU_DEP_1)
	v_lshlrev_b64 v[8:9], 2, v[8:9]
	v_add_co_u32 v8, vcc_lo, s28, v8
	s_delay_alu instid0(VALU_DEP_2)
	v_add_co_ci_u32_e32 v9, vcc_lo, s29, v9, vcc_lo
.LBB0_15:                               ; =>This Inner Loop Header: Depth=1
	s_mov_b32 m0, s0
	s_add_u32 s0, s0, 1
	v_movrels_b32_e32 v10, v0
	s_addc_u32 s1, s1, 0
	s_cmp_lg_u32 s27, s0
	global_store_b32 v[8:9], v10, off
	v_add_co_u32 v8, vcc_lo, v8, 4
	v_add_co_ci_u32_e32 v9, vcc_lo, 0, v9, vcc_lo
	s_cbranch_scc1 .LBB0_15
.LBB0_16:
	s_nop 0
	s_sendmsg sendmsg(MSG_DEALLOC_VGPRS)
	s_endpgm
	.section	.rodata,"a",@progbits
	.p2align	6, 0x0
	.amdhsa_kernel _Z19selective_scan_basePKfS0_S0_S0_S0_S0_S0_S0_biiiiPfS1_
		.amdhsa_group_segment_fixed_size 0
		.amdhsa_private_segment_fixed_size 0
		.amdhsa_kernarg_size 360
		.amdhsa_user_sgpr_count 14
		.amdhsa_user_sgpr_dispatch_ptr 0
		.amdhsa_user_sgpr_queue_ptr 0
		.amdhsa_user_sgpr_kernarg_segment_ptr 1
		.amdhsa_user_sgpr_dispatch_id 0
		.amdhsa_user_sgpr_private_segment_size 0
		.amdhsa_wavefront_size32 1
		.amdhsa_uses_dynamic_stack 0
		.amdhsa_enable_private_segment 0
		.amdhsa_system_sgpr_workgroup_id_x 1
		.amdhsa_system_sgpr_workgroup_id_y 1
		.amdhsa_system_sgpr_workgroup_id_z 0
		.amdhsa_system_sgpr_workgroup_info 0
		.amdhsa_system_vgpr_workitem_id 0
		.amdhsa_next_free_vgpr 24
		.amdhsa_next_free_sgpr 32
		.amdhsa_reserve_vcc 1
		.amdhsa_float_round_mode_32 0
		.amdhsa_float_round_mode_16_64 0
		.amdhsa_float_denorm_mode_32 3
		.amdhsa_float_denorm_mode_16_64 3
		.amdhsa_dx10_clamp 1
		.amdhsa_ieee_mode 1
		.amdhsa_fp16_overflow 0
		.amdhsa_workgroup_processor_mode 1
		.amdhsa_memory_ordered 1
		.amdhsa_forward_progress 0
		.amdhsa_shared_vgpr_count 0
		.amdhsa_exception_fp_ieee_invalid_op 0
		.amdhsa_exception_fp_denorm_src 0
		.amdhsa_exception_fp_ieee_div_zero 0
		.amdhsa_exception_fp_ieee_overflow 0
		.amdhsa_exception_fp_ieee_underflow 0
		.amdhsa_exception_fp_ieee_inexact 0
		.amdhsa_exception_int_div_zero 0
	.end_amdhsa_kernel
	.text
.Lfunc_end0:
	.size	_Z19selective_scan_basePKfS0_S0_S0_S0_S0_S0_S0_biiiiPfS1_, .Lfunc_end0-_Z19selective_scan_basePKfS0_S0_S0_S0_S0_S0_S0_biiiiPfS1_
                                        ; -- End function
	.section	.AMDGPU.csdata,"",@progbits
; Kernel info:
; codeLenInByte = 1140
; NumSgprs: 34
; NumVgprs: 24
; ScratchSize: 0
; MemoryBound: 0
; FloatMode: 240
; IeeeMode: 1
; LDSByteSize: 0 bytes/workgroup (compile time only)
; SGPRBlocks: 4
; VGPRBlocks: 2
; NumSGPRsForWavesPerEU: 34
; NumVGPRsForWavesPerEU: 24
; Occupancy: 16
; WaveLimiterHint : 0
; COMPUTE_PGM_RSRC2:SCRATCH_EN: 0
; COMPUTE_PGM_RSRC2:USER_SGPR: 14
; COMPUTE_PGM_RSRC2:TRAP_HANDLER: 0
; COMPUTE_PGM_RSRC2:TGID_X_EN: 1
; COMPUTE_PGM_RSRC2:TGID_Y_EN: 1
; COMPUTE_PGM_RSRC2:TGID_Z_EN: 0
; COMPUTE_PGM_RSRC2:TIDIG_COMP_CNT: 0
	.section	.text._Z26selective_scan_vllm_kernelI18SSMFwdKernelTraitsILi128ELi4ELi8ELb1ELb1ELb1EEEv13SSMParamsBase,"axG",@progbits,_Z26selective_scan_vllm_kernelI18SSMFwdKernelTraitsILi128ELi4ELi8ELb1ELb1ELb1EEEv13SSMParamsBase,comdat
	.protected	_Z26selective_scan_vllm_kernelI18SSMFwdKernelTraitsILi128ELi4ELi8ELb1ELb1ELb1EEEv13SSMParamsBase ; -- Begin function _Z26selective_scan_vllm_kernelI18SSMFwdKernelTraitsILi128ELi4ELi8ELb1ELb1ELb1EEEv13SSMParamsBase
	.globl	_Z26selective_scan_vllm_kernelI18SSMFwdKernelTraitsILi128ELi4ELi8ELb1ELb1ELb1EEEv13SSMParamsBase
	.p2align	8
	.type	_Z26selective_scan_vllm_kernelI18SSMFwdKernelTraitsILi128ELi4ELi8ELb1ELb1ELb1EEEv13SSMParamsBase,@function
_Z26selective_scan_vllm_kernelI18SSMFwdKernelTraitsILi128ELi4ELi8ELb1ELb1ELb1EEEv13SSMParamsBase: ; @_Z26selective_scan_vllm_kernelI18SSMFwdKernelTraitsILi128ELi4ELi8ELb1ELb1ELb1EEEv13SSMParamsBase
; %bb.0:
	s_clause 0x5
	s_load_b32 s2, s[0:1], 0x4
	s_load_b32 s33, s[0:1], 0x10
	s_load_b512 s[16:31], s[0:1], 0x18
	s_load_b256 s[36:43], s[0:1], 0x58
	s_load_b64 s[48:49], s[0:1], 0x88
	s_load_b128 s[44:47], s[0:1], 0x78
	v_cmp_eq_u32_e64 s1, 0, v0
	s_abs_i32 s6, s14
	s_ashr_i32 s5, s14, 31
	s_mov_b32 s52, 0
	s_waitcnt lgkmcnt(0)
	s_abs_i32 s3, s2
	s_ashr_i32 s7, s2, 31
	v_cvt_f32_u32_e32 v1, s3
	s_sub_i32 s0, 0, s3
	s_delay_alu instid0(VALU_DEP_1) | instskip(SKIP_2) | instid1(VALU_DEP_1)
	v_rcp_iflag_f32_e32 v1, v1
	s_waitcnt_depctr 0xfff
	v_mul_f32_e32 v1, 0x4f7ffffe, v1
	v_cvt_u32_f32_e32 v1, v1
	s_delay_alu instid0(VALU_DEP_1) | instskip(NEXT) | instid1(VALU_DEP_1)
	v_readfirstlane_b32 s4, v1
	s_mul_i32 s0, s0, s4
	s_delay_alu instid0(SALU_CYCLE_1) | instskip(SKIP_2) | instid1(SALU_CYCLE_1)
	s_mul_hi_u32 s8, s4, s0
	v_cmp_ne_u32_e64 s0, 0, v0
	s_add_i32 s4, s4, s8
	s_mul_hi_u32 s4, s6, s4
	s_and_saveexec_b32 s8, s1
	s_cbranch_execz .LBB1_2
; %bb.1:
	v_dual_mov_b32 v1, 0x7f :: v_dual_mov_b32 v2, 3
	v_mov_b32_e32 v3, 0
	ds_store_b64 v3, v[1:2] offset:36960
.LBB1_2:
	s_or_b32 exec_lo, exec_lo, s8
	s_mul_i32 s8, s4, s3
	s_xor_b32 s5, s5, s7
	s_sub_i32 s6, s6, s8
	s_add_i32 s7, s4, 1
	s_sub_i32 s8, s6, s3
	s_cmp_ge_u32 s6, s3
	v_dual_mov_b32 v18, 0 :: v_dual_lshlrev_b32 v11, 2, v0
	s_cselect_b32 s4, s7, s4
	s_cselect_b32 s6, s8, s6
	s_add_i32 s7, s4, 1
	s_cmp_ge_u32 s6, s3
	s_waitcnt lgkmcnt(0)
	s_cselect_b32 s3, s7, s4
	s_lshl_b32 s53, s15, 9
	s_xor_b32 s3, s3, s5
	v_or_b32_e32 v1, s53, v11
	s_sub_i32 s54, s3, s5
	s_barrier
	s_mul_i32 s4, s54, s2
	s_mul_i32 s2, s54, s44
	s_sub_i32 s50, s14, s4
	s_ashr_i32 s3, s2, 31
	v_ashrrev_i32_e32 v2, 31, v1
	s_lshl_b64 s[34:35], s[2:3], 2
	s_mul_i32 s2, s50, s45
	s_add_u32 s4, s16, s34
	s_addc_u32 s5, s17, s35
	s_ashr_i32 s3, s2, 31
	v_lshlrev_b64 v[9:10], 2, v[1:2]
	s_lshl_b64 s[44:45], s[2:3], 2
	buffer_gl0_inv
	s_add_u32 s2, s4, s44
	s_addc_u32 s3, s5, s45
	s_add_u32 s4, s18, s34
	s_addc_u32 s5, s19, s35
	;; [unrolled: 2-line block ×3, first 2 shown]
	v_add_co_u32 v1, vcc_lo, s4, v9
	v_add_co_ci_u32_e32 v2, vcc_lo, s5, v10, vcc_lo
	v_add_co_u32 v5, vcc_lo, s2, v9
	v_add_co_ci_u32_e32 v6, vcc_lo, s3, v10, vcc_lo
	global_load_b128 v[1:4], v[1:2], off
	s_ashr_i32 s51, s50, 31
	v_mbcnt_lo_u32_b32 v15, -1, 0
	global_load_b128 v[5:8], v[5:6], off
	s_lshl_b64 s[18:19], s[50:51], 2
	v_lshrrev_b32_e32 v17, 2, v0
	s_add_u32 s2, s28, s18
	s_addc_u32 s3, s29, s19
	v_or_b32_e32 v16, 31, v0
	s_load_b32 s5, s[2:3], 0x0
	v_lshlrev_b32_e32 v14, 4, v0
	v_and_b32_e32 v17, 24, v17
	s_mul_i32 s51, s14, s33
	v_cmp_eq_u32_e64 s4, v16, v0
	ds_load_b64 v[12:13], v18 offset:36960
	s_mul_i32 s28, s54, s46
	s_mul_i32 s54, s54, s48
	v_add3_u32 v11, s28, s53, v11
	v_cmp_gt_u32_e64 s2, 4, v0
	v_cmp_lt_u32_e64 s3, 31, v0
	v_lshl_add_u32 v19, v0, 3, 0
	s_waitcnt vmcnt(1) lgkmcnt(0)
	v_dual_add_f32 v2, s5, v2 :: v_dual_add_f32 v1, s5, v1
	v_dual_add_f32 v3, s5, v3 :: v_dual_add_nc_u32 v20, 0, v14
	v_add_f32_e32 v4, s5, v4
	s_delay_alu instid0(VALU_DEP_3) | instskip(SKIP_1) | instid1(VALU_DEP_3)
	v_dual_mul_f32 v25, 0x3fb8aa3b, v2 :: v_dual_and_b32 v24, 16, v15
	v_add3_u32 v21, 0, 32, v14
	v_dual_mul_f32 v27, 0x3fb8aa3b, v3 :: v_dual_mul_f32 v28, 0x3fb8aa3b, v4
	s_delay_alu instid0(VALU_DEP_3) | instskip(NEXT) | instid1(VALU_DEP_4)
	v_cmp_ne_u32_e64 s10, 0, v24
	v_exp_f32_e32 v25, v25
	v_add3_u32 v22, 0, 0x820, v14
	s_delay_alu instid0(VALU_DEP_3) | instskip(SKIP_4) | instid1(VALU_DEP_2)
	v_exp_f32_e32 v27, v27
	v_exp_f32_e32 v28, v28
	v_add_nc_u32_e32 v16, -1, v15
	v_dual_mul_f32 v23, 0x3fb8aa3b, v1 :: v_dual_and_b32 v14, 15, v15
	v_cmp_eq_u32_e64 s5, 0, v15
	v_cmp_ne_u32_e64 s6, 0, v14
	s_delay_alu instid0(VALU_DEP_3)
	v_exp_f32_e32 v29, v23
	s_waitcnt_depctr 0xfff
	v_dual_add_f32 v24, 1.0, v27 :: v_dual_add_f32 v27, 1.0, v28
	v_cmp_gt_i32_e32 vcc_lo, 0, v16
	v_add_nc_u32_e32 v23, 0x820, v20
	v_cmp_lt_u32_e64 s7, 1, v14
	s_delay_alu instid0(VALU_DEP_4)
	v_cmp_gt_f32_e64 s14, 0x800000, v24
	v_cmp_gt_f32_e64 s16, 0x800000, v27
	v_cmp_lt_u32_e64 s8, 3, v14
	v_cmp_lt_u32_e64 s9, 7, v14
	v_add_f32_e32 v14, 1.0, v29
	v_cndmask_b32_e64 v30, 1.0, 0x4f800000, s14
	v_and_b32_e32 v26, 3, v15
	v_dual_cndmask_b32 v15, v16, v15 :: v_dual_add_f32 v16, 1.0, v25
	v_add_nc_u32_e32 v25, 0, v17
	s_delay_alu instid0(VALU_DEP_4)
	v_mul_f32_e32 v17, v24, v30
	v_cndmask_b32_e64 v31, 1.0, 0x4f800000, s16
	v_cmp_gt_f32_e32 vcc_lo, 0x800000, v14
	v_cmp_ne_u32_e64 s11, 0, v26
	v_cmp_lt_u32_e64 s12, 1, v26
	v_log_f32_e32 v17, v17
	v_mul_f32_e32 v24, v27, v31
	v_cndmask_b32_e64 v28, 1.0, 0x4f800000, vcc_lo
	v_add_nc_u32_e32 v27, 0x1020, v20
	v_cmp_gt_f32_e64 s13, 0x800000, v16
	v_cndmask_b32_e64 v35, 0, 0x41b17218, s16
	v_cndmask_b32_e64 v34, 0, 0x41b17218, s14
	v_mul_f32_e32 v14, v14, v28
	s_add_u32 s16, s26, s18
	v_cndmask_b32_e64 v29, 1.0, 0x4f800000, s13
	v_mul_f32_e32 v31, 0x3f317217, v17
	v_log_f32_e32 v24, v24
	v_cndmask_b32_e64 v33, 0, 0x41b17218, s13
	s_addc_u32 s17, s27, s19
	s_mul_i32 s14, s50, s49
	v_fma_f32 v31, 0x3f317217, v17, -v31
	v_lshlrev_b32_e32 v28, 2, v15
	v_cndmask_b32_e64 v15, 0, 0x41b17218, vcc_lo
	v_cmp_eq_u32_e64 s13, v0, v12
	s_delay_alu instid0(VALU_DEP_4)
	v_fmac_f32_e32 v31, 0x3377d1cf, v17
	s_delay_alu instid0(TRANS32_DEP_1) | instid1(VALU_DEP_1)
	v_dual_mul_f32 v32, 0x3f317217, v24 :: v_dual_fmac_f32 v31, 0x3f317217, v17
	v_mul_f32_e32 v16, v16, v29
	v_add_nc_u32_e32 v29, -8, v25
	v_log_f32_e32 v14, v14
	s_delay_alu instid0(VALU_DEP_3) | instskip(NEXT) | instid1(VALU_DEP_3)
	v_fma_f32 v32, 0x3f317217, v24, -v32
	v_log_f32_e32 v16, v16
	s_delay_alu instid0(VALU_DEP_1)
	v_fmac_f32_e32 v32, 0x3377d1cf, v24
	s_waitcnt_depctr 0xfff
	v_mul_f32_e32 v26, 0x3f317217, v14
	v_cmp_gt_f32_e64 vcc_lo, 0x7f800000, |v14|
	v_fmac_f32_e32 v32, 0x3f317217, v24
	v_mul_f32_e32 v30, 0x3f317217, v16
	s_delay_alu instid0(VALU_DEP_4) | instskip(NEXT) | instid1(VALU_DEP_2)
	v_fma_f32 v26, 0x3f317217, v14, -v26
	v_fma_f32 v30, 0x3f317217, v16, -v30
	s_delay_alu instid0(VALU_DEP_2) | instskip(NEXT) | instid1(VALU_DEP_2)
	v_fmac_f32_e32 v26, 0x3377d1cf, v14
	v_fmac_f32_e32 v30, 0x3377d1cf, v16
	s_delay_alu instid0(VALU_DEP_2) | instskip(NEXT) | instid1(VALU_DEP_2)
	v_fmac_f32_e32 v26, 0x3f317217, v14
	v_fmac_f32_e32 v30, 0x3f317217, v16
	s_delay_alu instid0(VALU_DEP_2) | instskip(SKIP_1) | instid1(VALU_DEP_2)
	v_cndmask_b32_e32 v14, v14, v26, vcc_lo
	v_cmp_gt_f32_e64 vcc_lo, 0x7f800000, |v16|
	v_sub_f32_e32 v14, v14, v15
	s_delay_alu instid0(VALU_DEP_4) | instskip(SKIP_1) | instid1(VALU_DEP_2)
	v_cndmask_b32_e32 v16, v16, v30, vcc_lo
	v_cmp_gt_f32_e64 vcc_lo, 0x7f800000, |v17|
	v_sub_f32_e32 v15, v16, v33
	v_cndmask_b32_e32 v17, v17, v31, vcc_lo
	v_cmp_gt_f32_e64 vcc_lo, 0x7f800000, |v24|
	s_delay_alu instid0(VALU_DEP_2) | instskip(SKIP_2) | instid1(VALU_DEP_2)
	v_sub_f32_e32 v16, v17, v34
	v_cndmask_b32_e32 v24, v24, v32, vcc_lo
	v_cmp_lt_f32_e32 vcc_lo, 0x41a00000, v1
	v_sub_f32_e32 v17, v24, v35
	v_cndmask_b32_e32 v1, v14, v1, vcc_lo
	v_cmp_lt_f32_e32 vcc_lo, 0x41a00000, v2
	v_cndmask_b32_e32 v2, v15, v2, vcc_lo
	v_cmp_lt_f32_e32 vcc_lo, 0x41a00000, v3
	;; [unrolled: 2-line block ×3, first 2 shown]
	v_cndmask_b32_e32 v4, v17, v4, vcc_lo
	s_waitcnt vmcnt(0)
	ds_store_2addr_b32 v20, v5, v6 offset0:8 offset1:9
	ds_store_2addr_b32 v21, v7, v8 offset0:2 offset1:3
	ds_store_2addr_b32 v23, v1, v2 offset1:1
	ds_store_2addr_b32 v22, v3, v4 offset0:2 offset1:3
	s_waitcnt lgkmcnt(0)
	s_barrier
	buffer_gl0_inv
	s_load_b32 s18, s[16:17], 0x0
	ds_load_2addr_b32 v[1:2], v20 offset0:8 offset1:9
	ds_load_2addr_b32 v[3:4], v21 offset0:2 offset1:3
	s_lshl_b32 s16, s50, 3
	s_cmp_lg_u32 s15, 0
	v_lshlrev_b32_e32 v5, 3, v13
	s_cselect_b32 s26, -1, 0
	s_add_i32 s14, s14, s54
	s_ashr_i32 s27, s15, 31
	s_add_u32 s28, s40, -4
	s_addc_u32 s29, s41, -1
	s_add_u32 s46, s42, -4
	s_addc_u32 s48, s43, -1
	s_ashr_i32 s17, s16, 31
	v_add_nc_u32_e32 v32, 0, v5
	s_lshl_b64 s[16:17], s[16:17], 2
	s_lshl_b32 s49, s51, 3
	s_add_u32 s16, s20, s16
	s_addc_u32 s17, s21, s17
	s_add_i32 s50, 0, 0x9020
	s_waitcnt lgkmcnt(0)
	v_dual_mul_f32 v31, s18, v1 :: v_dual_mul_f32 v30, s18, v2
	v_mul_f32_e32 v26, s18, v3
	v_mul_f32_e32 v24, s18, v4
	s_mov_b32 s18, s14
	s_branch .LBB1_4
.LBB1_3:                                ;   in Loop: Header=BB1_4 Depth=1
	s_or_b32 exec_lo, exec_lo, s19
	s_waitcnt vmcnt(1)
	v_fma_f32 v5, v13, v5, v6
	v_fmac_f32_e32 v8, v13, v7
	s_waitcnt vmcnt(0)
	v_fma_f32 v1, v13, v1, v2
	v_fmac_f32_e32 v4, v13, v3
	s_add_i32 s50, s50, 4
	s_waitcnt lgkmcnt(1)
	v_dual_fmac_f32 v31, v16, v5 :: v_dual_fmac_f32 v30, v17, v8
	s_waitcnt lgkmcnt(0)
	v_dual_fmac_f32 v26, v14, v1 :: v_dual_add_nc_u32 v11, s47, v11
	v_fmac_f32_e32 v24, v15, v4
	s_addk_i32 s52, 0x800
	s_add_i32 s18, s18, 1
	s_add_i32 s49, s49, s33
	s_add_u32 s16, s16, 4
	s_addc_u32 s17, s17, 0
	s_cmpk_eq_i32 s52, 0x4000
	s_waitcnt_vscnt null, 0x0
	s_barrier
	buffer_gl0_inv
	s_cbranch_scc1 .LBB1_32
.LBB1_4:                                ; =>This Inner Loop Header: Depth=1
	s_and_saveexec_b32 s51, s1
	s_cbranch_execz .LBB1_9
; %bb.5:                                ;   in Loop: Header=BB1_4 Depth=1
	s_and_b32 vcc_lo, exec_lo, s26
	s_cbranch_vccz .LBB1_31
; %bb.6:                                ;   in Loop: Header=BB1_4 Depth=1
	s_ashr_i32 s19, s49, 31
	s_add_u32 s20, s15, s49
	s_addc_u32 s21, s27, s19
	s_delay_alu instid0(SALU_CYCLE_1) | instskip(NEXT) | instid1(SALU_CYCLE_1)
	s_lshl_b64 s[20:21], s[20:21], 2
	s_add_u32 s54, s28, s20
	s_addc_u32 s55, s29, s21
	s_add_u32 s20, s46, s20
	global_load_b32 v1, v18, s[54:55]
	s_addc_u32 s21, s48, s21
	s_cbranch_execnz .LBB1_8
.LBB1_7:                                ;   in Loop: Header=BB1_4 Depth=1
	s_ashr_i32 s19, s18, 31
	s_waitcnt vmcnt(0)
	v_mov_b32_e32 v1, 1.0
	s_lshl_b64 s[20:21], s[18:19], 2
	s_delay_alu instid0(SALU_CYCLE_1)
	s_add_u32 s20, s36, s20
	s_addc_u32 s21, s37, s21
.LBB1_8:                                ;   in Loop: Header=BB1_4 Depth=1
	global_load_b32 v2, v18, s[20:21]
	v_mov_b32_e32 v3, s50
	s_waitcnt vmcnt(0)
	ds_store_2addr_b32 v3, v1, v2 offset1:8
.LBB1_9:                                ;   in Loop: Header=BB1_4 Depth=1
	s_or_b32 exec_lo, exec_lo, s51
	v_ashrrev_i32_e32 v12, 31, v11
	v_mov_b32_e32 v37, s50
	s_delay_alu instid0(VALU_DEP_2) | instskip(SKIP_1) | instid1(VALU_DEP_1)
	v_lshlrev_b64 v[1:2], 2, v[11:12]
	v_add_nc_u32_e32 v12, s52, v27
	v_add_nc_u32_e32 v16, 0x4000, v12
	s_delay_alu instid0(VALU_DEP_3) | instskip(NEXT) | instid1(VALU_DEP_4)
	v_add_co_u32 v3, vcc_lo, s22, v1
	v_add_co_ci_u32_e32 v4, vcc_lo, s23, v2, vcc_lo
	v_add_co_u32 v5, vcc_lo, s24, v1
	v_add_co_ci_u32_e32 v6, vcc_lo, s25, v2, vcc_lo
	global_load_b128 v[1:4], v[3:4], off
	global_load_b128 v[5:8], v[5:6], off
	v_add_nc_u32_e32 v33, 0x4008, v12
	s_waitcnt vmcnt(1)
	ds_store_2addr_b32 v12, v1, v2 offset1:1
	ds_store_2addr_b32 v12, v3, v4 offset0:2 offset1:3
	s_waitcnt vmcnt(0)
	ds_store_2addr_b32 v16, v5, v6 offset1:1
	ds_store_2addr_b32 v33, v7, v8 offset1:1
	s_waitcnt lgkmcnt(0)
	s_barrier
	buffer_gl0_inv
	global_load_b32 v17, v18, s[16:17]
	ds_load_2addr_b32 v[1:2], v23 offset1:1
	ds_load_2addr_b32 v[3:4], v22 offset0:2 offset1:3
	ds_load_2addr_b32 v[5:6], v12 offset1:1
	ds_load_2addr_b32 v[7:8], v12 offset0:2 offset1:3
	ds_load_2addr_b32 v[12:13], v20 offset0:8 offset1:9
	;; [unrolled: 1-line block ×3, first 2 shown]
	s_waitcnt lgkmcnt(3)
	v_dual_mul_f32 v6, v2, v6 :: v_dual_mul_f32 v5, v1, v5
	s_waitcnt vmcnt(0)
	v_mul_f32_e32 v34, v1, v17
	v_mul_f32_e32 v35, v2, v17
	;; [unrolled: 1-line block ×3, first 2 shown]
	s_waitcnt lgkmcnt(1)
	v_dual_mul_f32 v3, v3, v7 :: v_dual_mul_f32 v2, v12, v5
	s_delay_alu instid0(VALU_DEP_3) | instskip(NEXT) | instid1(VALU_DEP_3)
	v_dual_mul_f32 v34, 0x3fb8aa3b, v34 :: v_dual_mul_f32 v35, 0x3fb8aa3b, v35
	v_dual_mul_f32 v17, v4, v17 :: v_dual_mul_f32 v38, 0x3fb8aa3b, v36
	s_delay_alu instid0(VALU_DEP_2) | instskip(NEXT) | instid1(VALU_DEP_2)
	v_exp_f32_e32 v1, v34
	v_exp_f32_e32 v36, v35
	s_delay_alu instid0(VALU_DEP_1) | instskip(NEXT) | instid1(VALU_DEP_2)
	v_mul_f32_e32 v5, 0x3fb8aa3b, v17
	v_exp_f32_e32 v38, v38
	v_dual_mul_f32 v17, v13, v6 :: v_dual_mul_f32 v6, v4, v8
	s_waitcnt lgkmcnt(0)
	v_mul_f32_e32 v34, v14, v3
	v_exp_f32_e32 v35, v5
	ds_load_2addr_b32 v[12:13], v37 offset1:8
	v_mul_f32_e32 v37, v15, v6
	v_mul_f32_e32 v3, v1, v36
	v_fma_f32 v4, v2, v36, v17
	s_delay_alu instid0(VALU_DEP_2) | instskip(NEXT) | instid1(VALU_DEP_2)
	v_mul_f32_e32 v5, v3, v38
	v_fma_f32 v6, v4, v38, v34
	s_delay_alu instid0(VALU_DEP_2) | instskip(NEXT) | instid1(VALU_DEP_2)
	;; [unrolled: 3-line block ×3, first 2 shown]
	v_mov_b32_dpp v41, v7 row_shr:1 row_mask:0xf bank_mask:0xf
	v_mov_b32_dpp v42, v8 row_shr:1 row_mask:0xf bank_mask:0xf
	v_dual_mov_b32 v39, v8 :: v_dual_mov_b32 v40, v7
	v_dual_mov_b32 v14, v7 :: v_dual_mov_b32 v15, v8
	s_and_saveexec_b32 s19, s6
; %bb.10:                               ;   in Loop: Header=BB1_4 Depth=1
	v_dual_mov_b32 v39, v8 :: v_dual_mul_f32 v40, v7, v41
	s_delay_alu instid0(VALU_DEP_1) | instskip(NEXT) | instid1(VALU_DEP_1)
	v_dual_fmac_f32 v39, v7, v42 :: v_dual_mov_b32 v14, v40
	v_mov_b32_e32 v15, v39
; %bb.11:                               ;   in Loop: Header=BB1_4 Depth=1
	s_or_b32 exec_lo, exec_lo, s19
	s_delay_alu instid0(VALU_DEP_2) | instskip(NEXT) | instid1(VALU_DEP_2)
	v_mov_b32_dpp v41, v14 row_shr:2 row_mask:0xf bank_mask:0xf
	v_mov_b32_dpp v42, v15 row_shr:2 row_mask:0xf bank_mask:0xf
	s_and_saveexec_b32 s19, s7
; %bb.12:                               ;   in Loop: Header=BB1_4 Depth=1
	s_delay_alu instid0(VALU_DEP_2) | instskip(NEXT) | instid1(VALU_DEP_1)
	v_mul_f32_e32 v14, v40, v41
	v_dual_fmac_f32 v39, v40, v42 :: v_dual_mov_b32 v40, v14
	s_delay_alu instid0(VALU_DEP_1)
	v_mov_b32_e32 v15, v39
; %bb.13:                               ;   in Loop: Header=BB1_4 Depth=1
	s_or_b32 exec_lo, exec_lo, s19
	v_mov_b32_dpp v41, v14 row_shr:4 row_mask:0xf bank_mask:0xf
	s_delay_alu instid0(VALU_DEP_2)
	v_mov_b32_dpp v42, v15 row_shr:4 row_mask:0xf bank_mask:0xf
	s_and_saveexec_b32 s19, s8
; %bb.14:                               ;   in Loop: Header=BB1_4 Depth=1
	s_delay_alu instid0(VALU_DEP_2) | instskip(NEXT) | instid1(VALU_DEP_1)
	v_mul_f32_e32 v14, v40, v41
	v_dual_fmac_f32 v39, v40, v42 :: v_dual_mov_b32 v40, v14
	s_delay_alu instid0(VALU_DEP_1)
	v_mov_b32_e32 v15, v39
; %bb.15:                               ;   in Loop: Header=BB1_4 Depth=1
	s_or_b32 exec_lo, exec_lo, s19
	v_mov_b32_dpp v41, v14 row_shr:8 row_mask:0xf bank_mask:0xf
	s_delay_alu instid0(VALU_DEP_2)
	v_mov_b32_dpp v42, v15 row_shr:8 row_mask:0xf bank_mask:0xf
	s_and_saveexec_b32 s19, s9
; %bb.16:                               ;   in Loop: Header=BB1_4 Depth=1
	s_delay_alu instid0(VALU_DEP_2) | instskip(NEXT) | instid1(VALU_DEP_1)
	v_mul_f32_e32 v14, v40, v41
	v_dual_fmac_f32 v39, v40, v42 :: v_dual_mov_b32 v40, v14
	s_delay_alu instid0(VALU_DEP_1)
	v_mov_b32_e32 v15, v39
; %bb.17:                               ;   in Loop: Header=BB1_4 Depth=1
	s_or_b32 exec_lo, exec_lo, s19
	ds_swizzle_b32 v41, v14 offset:swizzle(BROADCAST,32,15)
	ds_swizzle_b32 v42, v15 offset:swizzle(BROADCAST,32,15)
	s_and_saveexec_b32 s19, s10
	s_cbranch_execz .LBB1_19
; %bb.18:                               ;   in Loop: Header=BB1_4 Depth=1
	s_waitcnt lgkmcnt(0)
	v_fmac_f32_e32 v39, v40, v42
	s_delay_alu instid0(VALU_DEP_1) | instskip(NEXT) | instid1(VALU_DEP_1)
	v_dual_mul_f32 v40, v40, v41 :: v_dual_mov_b32 v15, v39
	v_mov_b32_e32 v14, v40
.LBB1_19:                               ;   in Loop: Header=BB1_4 Depth=1
	s_or_b32 exec_lo, exec_lo, s19
	s_and_saveexec_b32 s19, s4
	s_cbranch_execz .LBB1_21
; %bb.20:                               ;   in Loop: Header=BB1_4 Depth=1
	ds_store_2addr_b32 v25, v14, v15 offset1:1
.LBB1_21:                               ;   in Loop: Header=BB1_4 Depth=1
	s_or_b32 exec_lo, exec_lo, s19
	s_waitcnt lgkmcnt(0)
	s_barrier
	buffer_gl0_inv
	s_and_saveexec_b32 s19, s2
	s_cbranch_execz .LBB1_25
; %bb.22:                               ;   in Loop: Header=BB1_4 Depth=1
	ds_load_2addr_b32 v[14:15], v19 offset1:1
	s_waitcnt lgkmcnt(0)
	v_mov_b32_dpp v41, v14 row_shr:1 row_mask:0xf bank_mask:0xf
	v_mov_b32_dpp v42, v15 row_shr:1 row_mask:0xf bank_mask:0xf
	s_and_saveexec_b32 s20, s11
; %bb.23:                               ;   in Loop: Header=BB1_4 Depth=1
	s_delay_alu instid0(VALU_DEP_1) | instskip(NEXT) | instid1(VALU_DEP_3)
	v_fma_f32 v15, v14, v42, v15
	v_mul_f32_e32 v14, v14, v41
; %bb.24:                               ;   in Loop: Header=BB1_4 Depth=1
	s_or_b32 exec_lo, exec_lo, s20
	s_delay_alu instid0(VALU_DEP_1) | instskip(NEXT) | instid1(VALU_DEP_3)
	v_mov_b32_dpp v41, v14 row_shr:2 row_mask:0xf bank_mask:0xf
	v_mov_b32_dpp v42, v15 row_shr:2 row_mask:0xf bank_mask:0xf
	s_delay_alu instid0(VALU_DEP_2) | instskip(NEXT) | instid1(VALU_DEP_2)
	v_mul_f32_e32 v41, v14, v41
	v_fma_f32 v42, v14, v42, v15
	s_delay_alu instid0(VALU_DEP_2) | instskip(NEXT) | instid1(VALU_DEP_2)
	v_cndmask_b32_e64 v14, v14, v41, s12
	v_cndmask_b32_e64 v15, v15, v42, s12
	ds_store_2addr_b32 v19, v14, v15 offset1:1
.LBB1_25:                               ;   in Loop: Header=BB1_4 Depth=1
	s_or_b32 exec_lo, exec_lo, s19
	s_waitcnt lgkmcnt(0)
	s_barrier
	buffer_gl0_inv
                                        ; implicit-def: $vgpr15
	s_and_saveexec_b32 s19, s3
	s_cbranch_execz .LBB1_27
; %bb.26:                               ;   in Loop: Header=BB1_4 Depth=1
	ds_load_2addr_b32 v[14:15], v29 offset1:1
	s_waitcnt lgkmcnt(0)
	v_mul_f32_e32 v41, v40, v14
	s_delay_alu instid0(VALU_DEP_1)
	v_dual_fmac_f32 v39, v40, v15 :: v_dual_mov_b32 v40, v41
.LBB1_27:                               ;   in Loop: Header=BB1_4 Depth=1
	s_or_b32 exec_lo, exec_lo, s19
	ds_bpermute_b32 v40, v28, v40
	ds_bpermute_b32 v39, v28, v39
	s_and_saveexec_b32 s19, s0
	s_cbranch_execz .LBB1_29
; %bb.28:                               ;   in Loop: Header=BB1_4 Depth=1
	s_waitcnt lgkmcnt(0)
	v_cndmask_b32_e64 v3, v39, v15, s5
	v_cndmask_b32_e64 v4, v40, v14, s5
	;;#ASMSTART
	;;#ASMEND
	s_delay_alu instid0(VALU_DEP_2) | instskip(NEXT) | instid1(VALU_DEP_2)
	v_fmac_f32_e32 v2, v1, v3
	v_mul_f32_e32 v1, v1, v4
	s_delay_alu instid0(VALU_DEP_1) | instskip(NEXT) | instid1(VALU_DEP_1)
	v_mul_f32_e32 v3, v1, v36
	v_mul_f32_e32 v5, v3, v38
	s_delay_alu instid0(VALU_DEP_4) | instskip(NEXT) | instid1(VALU_DEP_2)
	v_fmac_f32_e32 v17, v2, v36
	v_mul_f32_e32 v7, v5, v35
	s_delay_alu instid0(VALU_DEP_2) | instskip(NEXT) | instid1(VALU_DEP_1)
	v_fmac_f32_e32 v34, v17, v38
	v_fmac_f32_e32 v37, v34, v35
	v_mov_b32_e32 v6, v34
	s_delay_alu instid0(VALU_DEP_2)
	v_mov_b32_e32 v8, v37
	v_mov_b32_e32 v4, v17
.LBB1_29:                               ;   in Loop: Header=BB1_4 Depth=1
	s_or_b32 exec_lo, exec_lo, s19
	s_clause 0x1
	scratch_store_b128 off, v[1:4], off
	scratch_store_b128 off, v[5:8], off offset:16
	s_waitcnt lgkmcnt(0)
	s_waitcnt_vscnt null, 0x0
	s_barrier
	buffer_gl0_inv
	s_clause 0x1
	scratch_load_b128 v[5:8], off, off
	scratch_load_b128 v[1:4], off, off offset:16
	ds_load_2addr_b32 v[16:17], v16 offset1:1
	ds_load_2addr_b32 v[14:15], v33 offset1:1
	s_and_saveexec_b32 s19, s13
	s_cbranch_execz .LBB1_3
; %bb.30:                               ;   in Loop: Header=BB1_4 Depth=1
	scratch_load_b64 v[33:34], v32, off
	s_add_i32 s20, s15, s49
	v_mov_b32_e32 v35, s50
	s_ashr_i32 s21, s20, 31
	s_delay_alu instid0(SALU_CYCLE_1) | instskip(NEXT) | instid1(SALU_CYCLE_1)
	s_lshl_b64 s[20:21], s[20:21], 2
	s_add_u32 s54, s40, s20
	s_addc_u32 s55, s41, s21
	s_add_u32 s20, s42, s20
	s_addc_u32 s21, s43, s21
	s_waitcnt vmcnt(0)
	v_mul_f32_e32 v12, v12, v33
	v_fmac_f32_e32 v34, v13, v33
	s_clause 0x1
	global_store_b32 v18, v12, s[54:55]
	global_store_b32 v18, v34, s[20:21]
	ds_store_2addr_b32 v35, v12, v34 offset1:8
	s_branch .LBB1_3
.LBB1_31:                               ;   in Loop: Header=BB1_4 Depth=1
                                        ; implicit-def: $sgpr20_sgpr21
                                        ; implicit-def: $vgpr1
	s_branch .LBB1_7
.LBB1_32:
	s_add_u32 s0, s30, s34
	s_addc_u32 s1, s31, s35
	s_add_u32 s0, s0, s44
	s_addc_u32 s1, s1, s45
	v_add_co_u32 v1, vcc_lo, s0, v9
	v_add_co_ci_u32_e32 v2, vcc_lo, s1, v10, vcc_lo
	s_add_u32 s0, s38, s34
	s_addc_u32 s1, s39, s35
	s_add_u32 s0, s0, s44
	global_load_b32 v3, v[1:2], off
	s_addc_u32 s1, s1, s45
	s_add_i32 s33, s33, -1
	s_delay_alu instid0(SALU_CYCLE_1) | instskip(SKIP_2) | instid1(VALU_DEP_1)
	s_cmp_eq_u32 s15, s33
	s_waitcnt vmcnt(0)
	v_mul_f32_e32 v4, 0xbfb8aa3b, v3
	v_exp_f32_e32 v4, v4
	s_waitcnt_depctr 0xfff
	v_add_f32_e32 v4, 1.0, v4
	s_delay_alu instid0(VALU_DEP_1) | instskip(SKIP_1) | instid1(VALU_DEP_2)
	v_div_scale_f32 v5, null, v4, v4, v3
	v_div_scale_f32 v8, vcc_lo, v3, v4, v3
	v_rcp_f32_e32 v6, v5
	s_waitcnt_depctr 0xfff
	v_fma_f32 v7, -v5, v6, 1.0
	s_delay_alu instid0(VALU_DEP_1) | instskip(NEXT) | instid1(VALU_DEP_1)
	v_fmac_f32_e32 v6, v7, v6
	v_mul_f32_e32 v7, v8, v6
	s_delay_alu instid0(VALU_DEP_1) | instskip(NEXT) | instid1(VALU_DEP_1)
	v_fma_f32 v11, -v5, v7, v8
	v_fmac_f32_e32 v7, v11, v6
	s_delay_alu instid0(VALU_DEP_1) | instskip(NEXT) | instid1(VALU_DEP_1)
	v_fma_f32 v5, -v5, v7, v8
	v_div_fmas_f32 v5, v5, v6, v7
	s_delay_alu instid0(VALU_DEP_1) | instskip(SKIP_2) | instid1(VALU_DEP_3)
	v_div_fixup_f32 v5, v5, v4, v3
	v_add_co_u32 v3, vcc_lo, s0, v9
	v_add_co_ci_u32_e32 v4, vcc_lo, s1, v10, vcc_lo
	v_mul_f32_e32 v5, v31, v5
	s_cselect_b32 s0, -1, 0
	global_store_b32 v[3:4], v5, off
	global_load_b32 v5, v[1:2], off offset:4
	s_waitcnt vmcnt(0)
	v_mul_f32_e32 v6, 0xbfb8aa3b, v5
	s_delay_alu instid0(VALU_DEP_1) | instskip(SKIP_2) | instid1(VALU_DEP_1)
	v_exp_f32_e32 v6, v6
	s_waitcnt_depctr 0xfff
	v_add_f32_e32 v6, 1.0, v6
	v_div_scale_f32 v7, null, v6, v6, v5
	v_div_scale_f32 v10, vcc_lo, v5, v6, v5
	s_delay_alu instid0(VALU_DEP_2) | instskip(SKIP_2) | instid1(VALU_DEP_1)
	v_rcp_f32_e32 v8, v7
	s_waitcnt_depctr 0xfff
	v_fma_f32 v9, -v7, v8, 1.0
	v_fmac_f32_e32 v8, v9, v8
	s_delay_alu instid0(VALU_DEP_1) | instskip(NEXT) | instid1(VALU_DEP_1)
	v_mul_f32_e32 v9, v10, v8
	v_fma_f32 v11, -v7, v9, v10
	s_delay_alu instid0(VALU_DEP_1) | instskip(NEXT) | instid1(VALU_DEP_1)
	v_fmac_f32_e32 v9, v11, v8
	v_fma_f32 v7, -v7, v9, v10
	s_delay_alu instid0(VALU_DEP_1) | instskip(NEXT) | instid1(VALU_DEP_1)
	v_div_fmas_f32 v7, v7, v8, v9
	v_div_fixup_f32 v5, v7, v6, v5
	s_delay_alu instid0(VALU_DEP_1) | instskip(SKIP_4) | instid1(VALU_DEP_1)
	v_mul_f32_e32 v5, v30, v5
	global_store_b32 v[3:4], v5, off offset:4
	global_load_b32 v5, v[1:2], off offset:8
	s_waitcnt vmcnt(0)
	v_mul_f32_e32 v6, 0xbfb8aa3b, v5
	v_exp_f32_e32 v6, v6
	s_waitcnt_depctr 0xfff
	v_add_f32_e32 v6, 1.0, v6
	s_delay_alu instid0(VALU_DEP_1) | instskip(SKIP_1) | instid1(VALU_DEP_2)
	v_div_scale_f32 v7, null, v6, v6, v5
	v_div_scale_f32 v10, vcc_lo, v5, v6, v5
	v_rcp_f32_e32 v8, v7
	s_waitcnt_depctr 0xfff
	v_fma_f32 v9, -v7, v8, 1.0
	s_delay_alu instid0(VALU_DEP_1) | instskip(NEXT) | instid1(VALU_DEP_1)
	v_fmac_f32_e32 v8, v9, v8
	v_mul_f32_e32 v9, v10, v8
	s_delay_alu instid0(VALU_DEP_1) | instskip(NEXT) | instid1(VALU_DEP_1)
	v_fma_f32 v11, -v7, v9, v10
	v_fmac_f32_e32 v9, v11, v8
	s_delay_alu instid0(VALU_DEP_1) | instskip(NEXT) | instid1(VALU_DEP_1)
	v_fma_f32 v7, -v7, v9, v10
	v_div_fmas_f32 v7, v7, v8, v9
	s_delay_alu instid0(VALU_DEP_1) | instskip(NEXT) | instid1(VALU_DEP_1)
	v_div_fixup_f32 v5, v7, v6, v5
	v_mul_f32_e32 v5, v26, v5
	global_store_b32 v[3:4], v5, off offset:8
	global_load_b32 v1, v[1:2], off offset:12
	s_waitcnt vmcnt(0)
	v_mul_f32_e32 v2, 0xbfb8aa3b, v1
	s_delay_alu instid0(VALU_DEP_1) | instskip(SKIP_2) | instid1(VALU_DEP_1)
	v_exp_f32_e32 v2, v2
	s_waitcnt_depctr 0xfff
	v_add_f32_e32 v2, 1.0, v2
	v_div_scale_f32 v5, null, v2, v2, v1
	v_div_scale_f32 v8, vcc_lo, v1, v2, v1
	s_delay_alu instid0(VALU_DEP_2) | instskip(SKIP_2) | instid1(VALU_DEP_1)
	v_rcp_f32_e32 v6, v5
	s_waitcnt_depctr 0xfff
	v_fma_f32 v7, -v5, v6, 1.0
	v_fmac_f32_e32 v6, v7, v6
	s_delay_alu instid0(VALU_DEP_1) | instskip(NEXT) | instid1(VALU_DEP_1)
	v_mul_f32_e32 v7, v8, v6
	v_fma_f32 v9, -v5, v7, v8
	s_delay_alu instid0(VALU_DEP_1) | instskip(NEXT) | instid1(VALU_DEP_1)
	v_fmac_f32_e32 v7, v9, v6
	v_fma_f32 v5, -v5, v7, v8
	s_delay_alu instid0(VALU_DEP_1) | instskip(SKIP_1) | instid1(VALU_DEP_2)
	v_div_fmas_f32 v5, v5, v6, v7
	v_cmp_gt_u32_e32 vcc_lo, 8, v0
	v_div_fixup_f32 v1, v5, v2, v1
	s_and_b32 s0, vcc_lo, s0
	s_delay_alu instid0(VALU_DEP_1)
	v_mul_f32_e32 v1, v24, v1
	global_store_b32 v[3:4], v1, off offset:12
	s_and_saveexec_b32 s1, s0
	s_cbranch_execz .LBB1_34
; %bb.33:
	v_lshl_add_u32 v1, v0, 2, 0
	v_add_nc_u32_e32 v0, s14, v0
	ds_load_b32 v2, v1 offset:36928
	v_ashrrev_i32_e32 v1, 31, v0
	s_delay_alu instid0(VALU_DEP_1) | instskip(NEXT) | instid1(VALU_DEP_1)
	v_lshlrev_b64 v[0:1], 2, v[0:1]
	v_add_co_u32 v0, vcc_lo, s36, v0
	s_delay_alu instid0(VALU_DEP_2)
	v_add_co_ci_u32_e32 v1, vcc_lo, s37, v1, vcc_lo
	s_waitcnt lgkmcnt(0)
	global_store_b32 v[0:1], v2, off
.LBB1_34:
	s_nop 0
	s_sendmsg sendmsg(MSG_DEALLOC_VGPRS)
	s_endpgm
	.section	.rodata,"a",@progbits
	.p2align	6, 0x0
	.amdhsa_kernel _Z26selective_scan_vllm_kernelI18SSMFwdKernelTraitsILi128ELi4ELi8ELb1ELb1ELb1EEEv13SSMParamsBase
		.amdhsa_group_segment_fixed_size 0
		.amdhsa_private_segment_fixed_size 48
		.amdhsa_kernarg_size 144
		.amdhsa_user_sgpr_count 14
		.amdhsa_user_sgpr_dispatch_ptr 0
		.amdhsa_user_sgpr_queue_ptr 0
		.amdhsa_user_sgpr_kernarg_segment_ptr 1
		.amdhsa_user_sgpr_dispatch_id 0
		.amdhsa_user_sgpr_private_segment_size 0
		.amdhsa_wavefront_size32 1
		.amdhsa_uses_dynamic_stack 0
		.amdhsa_enable_private_segment 1
		.amdhsa_system_sgpr_workgroup_id_x 1
		.amdhsa_system_sgpr_workgroup_id_y 1
		.amdhsa_system_sgpr_workgroup_id_z 0
		.amdhsa_system_sgpr_workgroup_info 0
		.amdhsa_system_vgpr_workitem_id 0
		.amdhsa_next_free_vgpr 43
		.amdhsa_next_free_sgpr 56
		.amdhsa_reserve_vcc 1
		.amdhsa_float_round_mode_32 0
		.amdhsa_float_round_mode_16_64 0
		.amdhsa_float_denorm_mode_32 3
		.amdhsa_float_denorm_mode_16_64 3
		.amdhsa_dx10_clamp 1
		.amdhsa_ieee_mode 1
		.amdhsa_fp16_overflow 0
		.amdhsa_workgroup_processor_mode 1
		.amdhsa_memory_ordered 1
		.amdhsa_forward_progress 0
		.amdhsa_shared_vgpr_count 0
		.amdhsa_exception_fp_ieee_invalid_op 0
		.amdhsa_exception_fp_denorm_src 0
		.amdhsa_exception_fp_ieee_div_zero 0
		.amdhsa_exception_fp_ieee_overflow 0
		.amdhsa_exception_fp_ieee_underflow 0
		.amdhsa_exception_fp_ieee_inexact 0
		.amdhsa_exception_int_div_zero 0
	.end_amdhsa_kernel
	.section	.text._Z26selective_scan_vllm_kernelI18SSMFwdKernelTraitsILi128ELi4ELi8ELb1ELb1ELb1EEEv13SSMParamsBase,"axG",@progbits,_Z26selective_scan_vllm_kernelI18SSMFwdKernelTraitsILi128ELi4ELi8ELb1ELb1ELb1EEEv13SSMParamsBase,comdat
.Lfunc_end1:
	.size	_Z26selective_scan_vllm_kernelI18SSMFwdKernelTraitsILi128ELi4ELi8ELb1ELb1ELb1EEEv13SSMParamsBase, .Lfunc_end1-_Z26selective_scan_vllm_kernelI18SSMFwdKernelTraitsILi128ELi4ELi8ELb1ELb1ELb1EEEv13SSMParamsBase
                                        ; -- End function
	.section	.AMDGPU.csdata,"",@progbits
; Kernel info:
; codeLenInByte = 3540
; NumSgprs: 58
; NumVgprs: 43
; ScratchSize: 48
; MemoryBound: 0
; FloatMode: 240
; IeeeMode: 1
; LDSByteSize: 0 bytes/workgroup (compile time only)
; SGPRBlocks: 7
; VGPRBlocks: 5
; NumSGPRsForWavesPerEU: 58
; NumVGPRsForWavesPerEU: 43
; Occupancy: 16
; WaveLimiterHint : 0
; COMPUTE_PGM_RSRC2:SCRATCH_EN: 1
; COMPUTE_PGM_RSRC2:USER_SGPR: 14
; COMPUTE_PGM_RSRC2:TRAP_HANDLER: 0
; COMPUTE_PGM_RSRC2:TGID_X_EN: 1
; COMPUTE_PGM_RSRC2:TGID_Y_EN: 1
; COMPUTE_PGM_RSRC2:TGID_Z_EN: 0
; COMPUTE_PGM_RSRC2:TIDIG_COMP_CNT: 0
	.section	.text._Z26selective_scan_vllm_kernelI18SSMFwdKernelTraitsILi128ELi4ELi8ELb1ELb1ELb0EEEv13SSMParamsBase,"axG",@progbits,_Z26selective_scan_vllm_kernelI18SSMFwdKernelTraitsILi128ELi4ELi8ELb1ELb1ELb0EEEv13SSMParamsBase,comdat
	.protected	_Z26selective_scan_vllm_kernelI18SSMFwdKernelTraitsILi128ELi4ELi8ELb1ELb1ELb0EEEv13SSMParamsBase ; -- Begin function _Z26selective_scan_vllm_kernelI18SSMFwdKernelTraitsILi128ELi4ELi8ELb1ELb1ELb0EEEv13SSMParamsBase
	.globl	_Z26selective_scan_vllm_kernelI18SSMFwdKernelTraitsILi128ELi4ELi8ELb1ELb1ELb0EEEv13SSMParamsBase
	.p2align	8
	.type	_Z26selective_scan_vllm_kernelI18SSMFwdKernelTraitsILi128ELi4ELi8ELb1ELb1ELb0EEEv13SSMParamsBase,@function
_Z26selective_scan_vllm_kernelI18SSMFwdKernelTraitsILi128ELi4ELi8ELb1ELb1ELb0EEEv13SSMParamsBase: ; @_Z26selective_scan_vllm_kernelI18SSMFwdKernelTraitsILi128ELi4ELi8ELb1ELb1ELb0EEEv13SSMParamsBase
; %bb.0:
	s_clause 0x3
	s_load_b64 s[8:9], s[0:1], 0x4
	s_load_b512 s[16:31], s[0:1], 0x18
	s_load_b64 s[10:11], s[0:1], 0x88
	s_load_b128 s[44:47], s[0:1], 0x78
	s_abs_i32 s12, s14
	s_ashr_i32 s7, s14, 31
	s_waitcnt lgkmcnt(0)
	s_abs_i32 s4, s8
	s_ashr_i32 s13, s8, 31
	v_cvt_f32_u32_e32 v1, s4
	s_sub_i32 s2, 0, s4
	s_delay_alu instid0(VALU_DEP_1) | instskip(SKIP_2) | instid1(VALU_DEP_1)
	v_rcp_iflag_f32_e32 v1, v1
	s_waitcnt_depctr 0xfff
	v_mul_f32_e32 v1, 0x4f7ffffe, v1
	v_cvt_u32_f32_e32 v1, v1
	s_delay_alu instid0(VALU_DEP_1) | instskip(NEXT) | instid1(VALU_DEP_1)
	v_readfirstlane_b32 s5, v1
	s_mul_i32 s3, s2, s5
	v_cmp_ne_u32_e64 s2, 0, v0
	s_mul_hi_u32 s6, s5, s3
	v_cmp_eq_u32_e64 s3, 0, v0
	s_add_i32 s5, s5, s6
	s_delay_alu instid0(SALU_CYCLE_1) | instskip(SKIP_1) | instid1(VALU_DEP_1)
	s_mul_hi_u32 s6, s12, s5
	s_lshl_b32 s5, s15, 9
	s_and_saveexec_b32 s33, s3
	s_cbranch_execz .LBB2_2
; %bb.1:
	s_add_i32 s34, s5, 0x200
	s_not_b32 s35, s5
	s_min_i32 s34, s34, s9
	v_mov_b32_e32 v3, 0
	s_add_i32 s34, s34, s35
	s_delay_alu instid0(SALU_CYCLE_1) | instskip(NEXT) | instid1(SALU_CYCLE_1)
	s_ashr_i32 s35, s34, 31
	s_lshr_b32 s35, s35, 30
	s_delay_alu instid0(SALU_CYCLE_1) | instskip(NEXT) | instid1(SALU_CYCLE_1)
	s_add_i32 s35, s34, s35
	s_and_b32 s36, s35, -4
	s_ashr_i32 s35, s35, 2
	s_sub_i32 s34, s34, s36
	s_delay_alu instid0(SALU_CYCLE_1)
	v_dual_mov_b32 v1, s35 :: v_dual_mov_b32 v2, s34
	ds_store_b64 v3, v[1:2] offset:36960
.LBB2_2:
	s_or_b32 exec_lo, exec_lo, s33
	s_mul_i32 s33, s6, s4
	s_xor_b32 s7, s7, s13
	s_sub_i32 s12, s12, s33
	s_add_i32 s13, s6, 1
	s_sub_i32 s33, s12, s4
	s_cmp_ge_u32 s12, s4
	v_dual_mov_b32 v5, 0 :: v_dual_mov_b32 v4, 0
	s_cselect_b32 s6, s13, s6
	s_cselect_b32 s12, s33, s12
	s_add_i32 s13, s6, 1
	s_cmp_ge_u32 s12, s4
	s_waitcnt lgkmcnt(0)
	s_cselect_b32 s4, s13, s6
	s_barrier
	s_xor_b32 s4, s4, s7
	buffer_gl0_inv
	s_sub_i32 s50, s4, s7
	ds_load_b64 v[1:2], v5 offset:36960
	s_mul_i32 s6, s50, s44
	s_mul_i32 s4, s50, s8
	s_ashr_i32 s7, s6, 31
	s_sub_i32 s12, s14, s4
	s_lshl_b64 s[34:35], s[6:7], 2
	v_lshlrev_b32_e32 v3, 2, v0
	s_mul_i32 s6, s12, s45
	s_add_u32 s4, s16, s34
	s_addc_u32 s13, s17, s35
	s_ashr_i32 s7, s6, 31
	v_add_nc_u32_e32 v9, s5, v3
	s_lshl_b64 s[44:45], s[6:7], 2
	s_delay_alu instid0(SALU_CYCLE_1)
	s_add_u32 s8, s4, s44
	s_addc_u32 s33, s13, s45
	s_ashr_i32 s13, s12, 31
	v_cmp_gt_i32_e64 s4, s9, v9
	s_lshl_b64 s[16:17], s[12:13], 2
	v_ashrrev_i32_e32 v10, 31, v9
	s_add_u32 s6, s28, s16
	s_addc_u32 s7, s29, s17
	s_and_saveexec_b32 s5, s4
	s_cbranch_execz .LBB2_4
; %bb.3:
	v_lshlrev_b64 v[6:7], 2, v[9:10]
	s_delay_alu instid0(VALU_DEP_1) | instskip(NEXT) | instid1(VALU_DEP_2)
	v_add_co_u32 v6, vcc_lo, s8, v6
	v_add_co_ci_u32_e32 v7, vcc_lo, s33, v7, vcc_lo
	global_load_b32 v4, v[6:7], off
.LBB2_4:
	s_or_b32 exec_lo, exec_lo, s5
	s_load_b32 s13, s[6:7], 0x0
	s_add_u32 s5, s18, s34
	s_addc_u32 s6, s19, s35
	s_add_u32 s18, s5, s44
	s_addc_u32 s19, s6, s45
	s_and_saveexec_b32 s5, s4
	s_cbranch_execz .LBB2_6
; %bb.5:
	v_lshlrev_b64 v[5:6], 2, v[9:10]
	s_delay_alu instid0(VALU_DEP_1) | instskip(NEXT) | instid1(VALU_DEP_2)
	v_add_co_u32 v5, vcc_lo, s18, v5
	v_add_co_ci_u32_e32 v6, vcc_lo, s19, v6, vcc_lo
	global_load_b32 v5, v[5:6], off
.LBB2_6:
	s_or_b32 exec_lo, exec_lo, s5
	s_waitcnt vmcnt(0) lgkmcnt(0)
	v_add_f32_e32 v5, s13, v5
	v_lshl_add_u32 v17, v3, 2, 0
	s_delay_alu instid0(VALU_DEP_2) | instskip(NEXT) | instid1(VALU_DEP_1)
	v_mul_f32_e32 v6, 0x3fb8aa3b, v5
	v_exp_f32_e32 v6, v6
	s_waitcnt_depctr 0xfff
	v_add_f32_e32 v6, 1.0, v6
	s_delay_alu instid0(VALU_DEP_1) | instskip(SKIP_2) | instid1(VALU_DEP_2)
	v_cmp_gt_f32_e32 vcc_lo, 0x800000, v6
	v_cndmask_b32_e64 v7, 1.0, 0x4f800000, vcc_lo
	v_cndmask_b32_e64 v8, 0, 0x41b17218, vcc_lo
	v_mul_f32_e32 v6, v6, v7
	s_delay_alu instid0(VALU_DEP_1) | instskip(SKIP_3) | instid1(VALU_DEP_2)
	v_log_f32_e32 v6, v6
	s_waitcnt_depctr 0xfff
	v_mul_f32_e32 v7, 0x3f317217, v6
	v_cmp_gt_f32_e64 vcc_lo, 0x7f800000, |v6|
	v_fma_f32 v7, 0x3f317217, v6, -v7
	s_delay_alu instid0(VALU_DEP_1) | instskip(NEXT) | instid1(VALU_DEP_1)
	v_fmamk_f32 v7, v6, 0x3377d1cf, v7
	v_fmac_f32_e32 v7, 0x3f317217, v6
	s_delay_alu instid0(VALU_DEP_1) | instskip(SKIP_2) | instid1(VALU_DEP_3)
	v_cndmask_b32_e32 v6, v6, v7, vcc_lo
	v_or_b32_e32 v7, 1, v9
	v_cmp_lt_f32_e32 vcc_lo, 0x41a00000, v5
	v_sub_f32_e32 v6, v6, v8
	v_add_nc_u32_e32 v8, 32, v17
	s_delay_alu instid0(VALU_DEP_4) | instskip(NEXT) | instid1(VALU_DEP_3)
	v_cmp_gt_i32_e64 s5, s9, v7
	v_dual_cndmask_b32 v7, v6, v5 :: v_dual_mov_b32 v6, 0
	v_mov_b32_e32 v5, 0
	ds_store_2addr_stride64_b32 v8, v4, v7 offset1:8
	s_and_saveexec_b32 s6, s5
	s_cbranch_execz .LBB2_8
; %bb.7:
	v_lshlrev_b64 v[4:5], 2, v[9:10]
	s_delay_alu instid0(VALU_DEP_1) | instskip(NEXT) | instid1(VALU_DEP_2)
	v_add_co_u32 v4, vcc_lo, s8, v4
	v_add_co_ci_u32_e32 v5, vcc_lo, s33, v5, vcc_lo
	global_load_b32 v5, v[4:5], off offset:4
.LBB2_8:
	s_or_b32 exec_lo, exec_lo, s6
	s_and_saveexec_b32 s6, s5
	s_cbranch_execz .LBB2_10
; %bb.9:
	v_lshlrev_b64 v[6:7], 2, v[9:10]
	s_delay_alu instid0(VALU_DEP_1) | instskip(NEXT) | instid1(VALU_DEP_2)
	v_add_co_u32 v6, vcc_lo, s18, v6
	v_add_co_ci_u32_e32 v7, vcc_lo, s19, v7, vcc_lo
	global_load_b32 v6, v[6:7], off offset:4
.LBB2_10:
	s_or_b32 exec_lo, exec_lo, s6
	s_waitcnt vmcnt(0)
	v_dual_add_f32 v4, s13, v6 :: v_dual_lshlrev_b32 v3, 2, v3
	s_delay_alu instid0(VALU_DEP_1) | instskip(NEXT) | instid1(VALU_DEP_2)
	v_mul_f32_e32 v6, 0x3fb8aa3b, v4
	v_add3_u32 v18, 0, 32, v3
	v_add3_u32 v19, 0, 0x820, v3
	v_mov_b32_e32 v3, 0
	s_delay_alu instid0(VALU_DEP_4) | instskip(SKIP_2) | instid1(VALU_DEP_1)
	v_exp_f32_e32 v6, v6
	s_waitcnt_depctr 0xfff
	v_add_f32_e32 v6, 1.0, v6
	v_cmp_gt_f32_e32 vcc_lo, 0x800000, v6
	v_cndmask_b32_e64 v7, 1.0, 0x4f800000, vcc_lo
	v_cndmask_b32_e64 v8, 0, 0x41b17218, vcc_lo
	s_delay_alu instid0(VALU_DEP_2) | instskip(NEXT) | instid1(VALU_DEP_1)
	v_mul_f32_e32 v6, v6, v7
	v_log_f32_e32 v6, v6
	s_waitcnt_depctr 0xfff
	v_mul_f32_e32 v7, 0x3f317217, v6
	v_cmp_gt_f32_e64 vcc_lo, 0x7f800000, |v6|
	s_delay_alu instid0(VALU_DEP_2) | instskip(NEXT) | instid1(VALU_DEP_1)
	v_fma_f32 v7, 0x3f317217, v6, -v7
	v_fmamk_f32 v7, v6, 0x3377d1cf, v7
	s_delay_alu instid0(VALU_DEP_1) | instskip(NEXT) | instid1(VALU_DEP_1)
	v_fmac_f32_e32 v7, 0x3f317217, v6
	v_cndmask_b32_e32 v6, v6, v7, vcc_lo
	v_or_b32_e32 v7, 2, v9
	v_cmp_lt_f32_e32 vcc_lo, 0x41a00000, v4
	s_delay_alu instid0(VALU_DEP_3) | instskip(NEXT) | instid1(VALU_DEP_3)
	v_sub_f32_e32 v6, v6, v8
	v_cmp_gt_i32_e64 s6, s9, v7
	s_delay_alu instid0(VALU_DEP_2)
	v_cndmask_b32_e32 v6, v6, v4, vcc_lo
	v_mov_b32_e32 v4, 0
	ds_store_b32 v18, v5 offset:4
	ds_store_b32 v19, v6 offset:4
	s_and_saveexec_b32 s7, s6
	s_cbranch_execz .LBB2_12
; %bb.11:
	v_lshlrev_b64 v[4:5], 2, v[9:10]
	s_delay_alu instid0(VALU_DEP_1) | instskip(NEXT) | instid1(VALU_DEP_2)
	v_add_co_u32 v4, vcc_lo, s8, v4
	v_add_co_ci_u32_e32 v5, vcc_lo, s33, v5, vcc_lo
	global_load_b32 v4, v[4:5], off offset:8
.LBB2_12:
	s_or_b32 exec_lo, exec_lo, s7
	s_and_saveexec_b32 s7, s6
	s_cbranch_execz .LBB2_14
; %bb.13:
	v_lshlrev_b64 v[5:6], 2, v[9:10]
	s_delay_alu instid0(VALU_DEP_1) | instskip(NEXT) | instid1(VALU_DEP_2)
	v_add_co_u32 v5, vcc_lo, s18, v5
	v_add_co_ci_u32_e32 v6, vcc_lo, s19, v6, vcc_lo
	global_load_b32 v3, v[5:6], off offset:8
.LBB2_14:
	s_or_b32 exec_lo, exec_lo, s7
	s_waitcnt vmcnt(0)
	v_add_f32_e32 v3, s13, v3
	s_delay_alu instid0(VALU_DEP_1) | instskip(NEXT) | instid1(VALU_DEP_1)
	v_mul_f32_e32 v5, 0x3fb8aa3b, v3
	v_exp_f32_e32 v5, v5
	s_waitcnt_depctr 0xfff
	v_add_f32_e32 v5, 1.0, v5
	s_delay_alu instid0(VALU_DEP_1) | instskip(SKIP_2) | instid1(VALU_DEP_2)
	v_cmp_gt_f32_e32 vcc_lo, 0x800000, v5
	v_cndmask_b32_e64 v6, 1.0, 0x4f800000, vcc_lo
	v_cndmask_b32_e64 v7, 0, 0x41b17218, vcc_lo
	v_mul_f32_e32 v5, v5, v6
	s_delay_alu instid0(VALU_DEP_1) | instskip(SKIP_4) | instid1(VALU_DEP_3)
	v_log_f32_e32 v5, v5
	s_waitcnt_depctr 0xfff
	v_mul_f32_e32 v6, 0x3f317217, v5
	v_cmp_gt_f32_e64 vcc_lo, 0x7f800000, |v5|
	v_cmp_lt_f32_e64 s7, 0x41a00000, v3
	v_fma_f32 v6, 0x3f317217, v5, -v6
	s_delay_alu instid0(VALU_DEP_1) | instskip(NEXT) | instid1(VALU_DEP_1)
	v_fmamk_f32 v6, v5, 0x3377d1cf, v6
	v_fmac_f32_e32 v6, 0x3f317217, v5
	s_delay_alu instid0(VALU_DEP_1) | instskip(SKIP_1) | instid1(VALU_DEP_2)
	v_cndmask_b32_e32 v5, v5, v6, vcc_lo
	v_or_b32_e32 v6, 3, v9
	v_sub_f32_e32 v5, v5, v7
	s_delay_alu instid0(VALU_DEP_2) | instskip(NEXT) | instid1(VALU_DEP_2)
	v_cmp_le_i32_e32 vcc_lo, s9, v6
	v_cndmask_b32_e64 v5, v5, v3, s7
	v_cmp_gt_i32_e64 s7, s9, v6
	v_mov_b32_e32 v3, 0
	ds_store_b32 v18, v4 offset:8
	ds_store_b32 v19, v5 offset:8
	s_and_saveexec_b32 s9, s7
	s_cbranch_execz .LBB2_16
; %bb.15:
	v_lshlrev_b64 v[3:4], 2, v[9:10]
	s_delay_alu instid0(VALU_DEP_1) | instskip(NEXT) | instid1(VALU_DEP_1)
	v_add_co_u32 v3, s8, s8, v3
	v_add_co_ci_u32_e64 v4, s8, s33, v4, s8
	global_load_b32 v3, v[3:4], off offset:12
.LBB2_16:
	s_or_b32 exec_lo, exec_lo, s9
                                        ; implicit-def: $sgpr9
	s_and_saveexec_b32 s8, vcc_lo
	s_delay_alu instid0(SALU_CYCLE_1)
	s_xor_b32 s8, exec_lo, s8
; %bb.17:
	s_mov_b32 s9, 0
; %bb.18:
	s_or_saveexec_b32 s8, s8
	s_clause 0x1
	s_load_b32 s33, s[0:1], 0x10
	s_load_b256 s[36:43], s[0:1], 0x58
	v_mov_b32_e32 v4, s9
	s_xor_b32 exec_lo, exec_lo, s8
	s_cbranch_execz .LBB2_20
; %bb.19:
	v_lshlrev_b64 v[4:5], 2, v[9:10]
	s_delay_alu instid0(VALU_DEP_1) | instskip(NEXT) | instid1(VALU_DEP_2)
	v_add_co_u32 v4, vcc_lo, s18, v4
	v_add_co_ci_u32_e32 v5, vcc_lo, s19, v5, vcc_lo
	global_load_b32 v4, v[4:5], off offset:12
.LBB2_20:
	s_or_b32 exec_lo, exec_lo, s8
	s_waitcnt vmcnt(0)
	v_add_f32_e32 v4, s13, v4
	v_cmp_eq_u32_e64 s8, v0, v1
	v_lshlrev_b32_e32 v1, 3, v2
	v_mbcnt_lo_u32_b32 v7, -1, 0
	v_or_b32_e32 v8, 31, v0
	v_dual_mul_f32 v5, 0x3fb8aa3b, v4 :: v_dual_mov_b32 v24, 0
	s_add_u32 s18, s26, s16
	s_addc_u32 s19, s27, s17
	s_lshl_b32 s26, s12, 3
	s_delay_alu instid0(VALU_DEP_1)
	v_exp_f32_e32 v5, v5
	s_mul_i32 s49, s50, s46
	s_mul_i32 s9, s50, s10
	;; [unrolled: 1-line block ×3, first 2 shown]
	s_cmp_lg_u32 s15, 0
	v_add_nc_u32_e32 v25, 0, v1
	s_cselect_b32 s50, -1, 0
	s_add_i32 s46, s46, s9
	v_cmp_eq_u32_e64 s9, v8, v0
	s_ashr_i32 s51, s15, 31
	s_waitcnt_depctr 0xfff
	v_add_f32_e32 v5, 1.0, v5
	s_waitcnt lgkmcnt(0)
	s_add_u32 s52, s40, -4
	s_addc_u32 s53, s41, -1
	s_add_u32 s54, s42, -4
	s_addc_u32 s55, s43, -1
	v_cmp_gt_f32_e32 vcc_lo, 0x800000, v5
	s_add_u32 s56, s22, 4
	s_mul_i32 s28, s14, s33
	v_cmp_gt_u32_e64 s0, 4, v0
	v_cmp_lt_u32_e64 s1, 31, v0
	v_cndmask_b32_e64 v6, 1.0, 0x4f800000, vcc_lo
	v_cndmask_b32_e64 v1, 0, 0x41b17218, vcc_lo
	v_lshl_add_u32 v22, v0, 3, 0
	v_cmp_eq_u32_e64 s10, 0, v7
	v_add_nc_u32_e32 v31, 0x820, v17
	v_dual_mul_f32 v5, v5, v6 :: v_dual_lshlrev_b32 v2, 4, v0
	v_lshrrev_b32_e32 v6, 2, v0
	s_mov_b32 s48, 0
	v_and_b32_e32 v12, 15, v7
	s_delay_alu instid0(VALU_DEP_3) | instskip(SKIP_1) | instid1(VALU_DEP_2)
	v_log_f32_e32 v5, v5
	v_add3_u32 v26, v2, 0, 0x1020
	v_cmp_ne_u32_e64 s11, 0, v12
	v_cmp_lt_u32_e64 s12, 1, v12
	v_cmp_lt_u32_e64 s13, 3, v12
	;; [unrolled: 1-line block ×3, first 2 shown]
	s_waitcnt_depctr 0xfff
	v_mul_f32_e32 v11, 0x3f317217, v5
	v_cmp_gt_f32_e64 vcc_lo, 0x7f800000, |v5|
	s_delay_alu instid0(VALU_DEP_2) | instskip(NEXT) | instid1(VALU_DEP_1)
	v_fma_f32 v11, 0x3f317217, v5, -v11
	v_dual_fmamk_f32 v11, v5, 0x3377d1cf, v11 :: v_dual_add_nc_u32 v8, -1, v7
	s_delay_alu instid0(VALU_DEP_1) | instskip(NEXT) | instid1(VALU_DEP_1)
	v_dual_fmac_f32 v11, 0x3f317217, v5 :: v_dual_and_b32 v6, 24, v6
	v_add_nc_u32_e32 v28, 0, v6
	s_delay_alu instid0(VALU_DEP_2) | instskip(SKIP_2) | instid1(VALU_DEP_3)
	v_cndmask_b32_e32 v2, v5, v11, vcc_lo
	v_and_b32_e32 v14, 3, v7
	v_cmp_lt_f32_e32 vcc_lo, 0x41a00000, v4
	v_dual_sub_f32 v1, v2, v1 :: v_dual_add_nc_u32 v30, -8, v28
	s_delay_alu instid0(VALU_DEP_3) | instskip(NEXT) | instid1(VALU_DEP_2)
	v_cmp_ne_u32_e64 s17, 0, v14
	v_cndmask_b32_e32 v1, v1, v4, vcc_lo
	ds_store_b32 v18, v3 offset:12
	ds_store_b32 v19, v1 offset:12
	s_waitcnt lgkmcnt(0)
	s_barrier
	buffer_gl0_inv
	s_load_b32 s29, s[18:19], 0x0
	ds_load_2addr_b32 v[1:2], v17 offset0:8 offset1:9
	ds_load_2addr_b32 v[3:4], v18 offset0:2 offset1:3
	s_addc_u32 s19, s23, 0
	s_add_u32 s57, s24, 4
	v_cmp_gt_i32_e32 vcc_lo, 0, v8
	s_addc_u32 s58, s25, 0
	s_add_u32 s59, s22, 8
	s_addc_u32 s60, s23, 0
	s_add_u32 s61, s24, 8
	s_addc_u32 s62, s25, 0
	v_and_b32_e32 v13, 16, v7
	v_cndmask_b32_e32 v5, v8, v7, vcc_lo
	s_add_u32 s63, s22, 12
	s_addc_u32 s64, s23, 0
	s_add_u32 s65, s24, 12
	s_addc_u32 s66, s25, 0
	s_ashr_i32 s27, s26, 31
	v_cmp_lt_u32_e64 s18, 1, v14
	v_lshlrev_b32_e32 v29, 2, v5
	s_lshl_b64 s[26:27], s[26:27], 2
	s_waitcnt lgkmcnt(0)
	v_mul_f32_e32 v27, s29, v1
	v_mul_f32_e32 v23, s29, v2
	v_dual_mul_f32 v21, s29, v3 :: v_dual_mul_f32 v20, s29, v4
	v_cmp_ne_u32_e64 s16, 0, v13
	s_lshl_b32 s67, s28, 3
	s_add_u32 s20, s20, s26
	s_addc_u32 s21, s21, s27
	s_mov_b32 s26, s46
	s_branch .LBB2_22
.LBB2_21:                               ;   in Loop: Header=BB2_22 Depth=1
	s_or_b32 exec_lo, exec_lo, s28
	s_waitcnt vmcnt(1)
	v_fma_f32 v1, v12, v1, v2
	v_fmac_f32_e32 v4, v12, v3
	s_waitcnt vmcnt(0)
	v_fma_f32 v2, v12, v5, v6
	v_fmac_f32_e32 v8, v12, v7
	s_add_i32 s48, s48, 4
	s_waitcnt lgkmcnt(1)
	v_fmac_f32_e32 v27, v15, v1
	v_dual_fmac_f32 v23, v16, v4 :: v_dual_add_nc_u32 v26, 0x800, v26
	s_waitcnt lgkmcnt(0)
	v_dual_fmac_f32 v21, v13, v2 :: v_dual_fmac_f32 v20, v14, v8
	s_add_i32 s49, s49, s47
	s_add_i32 s26, s26, 1
	;; [unrolled: 1-line block ×3, first 2 shown]
	s_add_u32 s20, s20, 4
	s_addc_u32 s21, s21, 0
	s_cmp_eq_u32 s48, 32
	s_waitcnt_vscnt null, 0x0
	s_barrier
	buffer_gl0_inv
	s_cbranch_scc1 .LBB2_66
.LBB2_22:                               ; =>This Inner Loop Header: Depth=1
	s_and_saveexec_b32 s68, s3
	s_cbranch_execz .LBB2_27
; %bb.23:                               ;   in Loop: Header=BB2_22 Depth=1
	s_and_b32 vcc_lo, exec_lo, s50
	s_cbranch_vccz .LBB2_65
; %bb.24:                               ;   in Loop: Header=BB2_22 Depth=1
	s_ashr_i32 s27, s67, 31
	s_add_u32 s28, s15, s67
	s_addc_u32 s29, s51, s27
	s_delay_alu instid0(SALU_CYCLE_1) | instskip(NEXT) | instid1(SALU_CYCLE_1)
	s_lshl_b64 s[28:29], s[28:29], 2
	s_add_u32 s70, s52, s28
	s_addc_u32 s71, s53, s29
	s_add_u32 s28, s54, s28
	global_load_b32 v1, v24, s[70:71]
	s_addc_u32 s29, s55, s29
	s_cbranch_execnz .LBB2_26
.LBB2_25:                               ;   in Loop: Header=BB2_22 Depth=1
	s_ashr_i32 s27, s26, 31
	s_waitcnt vmcnt(0)
	v_mov_b32_e32 v1, 1.0
	s_lshl_b64 s[28:29], s[26:27], 2
	s_delay_alu instid0(SALU_CYCLE_1)
	s_add_u32 s28, s36, s28
	s_addc_u32 s29, s37, s29
.LBB2_26:                               ;   in Loop: Header=BB2_22 Depth=1
	global_load_b32 v2, v24, s[28:29]
	s_add_i32 s27, s48, 0
	s_delay_alu instid0(SALU_CYCLE_1)
	v_add_nc_u32_e64 v3, 0x9000, s27
	s_waitcnt vmcnt(0)
	ds_store_2addr_b32 v3, v1, v2 offset0:8 offset1:16
.LBB2_27:                               ;   in Loop: Header=BB2_22 Depth=1
	s_or_b32 exec_lo, exec_lo, s68
	v_dual_mov_b32 v4, 0 :: v_dual_add_nc_u32 v1, s49, v9
	v_mov_b32_e32 v3, 0
	s_delay_alu instid0(VALU_DEP_2)
	v_ashrrev_i32_e32 v2, 31, v1
	s_and_saveexec_b32 s27, s4
	s_cbranch_execz .LBB2_29
; %bb.28:                               ;   in Loop: Header=BB2_22 Depth=1
	s_delay_alu instid0(VALU_DEP_1) | instskip(NEXT) | instid1(VALU_DEP_1)
	v_lshlrev_b64 v[4:5], 2, v[1:2]
	v_add_co_u32 v4, vcc_lo, s22, v4
	s_delay_alu instid0(VALU_DEP_2)
	v_add_co_ci_u32_e32 v5, vcc_lo, s23, v5, vcc_lo
	global_load_b32 v4, v[4:5], off
.LBB2_29:                               ;   in Loop: Header=BB2_22 Depth=1
	s_or_b32 exec_lo, exec_lo, s27
	s_waitcnt vmcnt(0)
	ds_store_b32 v26, v4
	s_and_saveexec_b32 s27, s4
	s_cbranch_execz .LBB2_31
; %bb.30:                               ;   in Loop: Header=BB2_22 Depth=1
	v_lshlrev_b64 v[1:2], 2, v[1:2]
	s_delay_alu instid0(VALU_DEP_1) | instskip(NEXT) | instid1(VALU_DEP_2)
	v_add_co_u32 v1, vcc_lo, s24, v1
	v_add_co_ci_u32_e32 v2, vcc_lo, s25, v2, vcc_lo
	global_load_b32 v3, v[1:2], off
.LBB2_31:                               ;   in Loop: Header=BB2_22 Depth=1
	s_or_b32 exec_lo, exec_lo, s27
	v_dual_mov_b32 v1, 0 :: v_dual_mov_b32 v2, 0
	s_waitcnt vmcnt(0)
	ds_store_b32 v26, v3 offset:16384
	s_and_saveexec_b32 s27, s5
	s_cbranch_execz .LBB2_33
; %bb.32:                               ;   in Loop: Header=BB2_22 Depth=1
	s_ashr_i32 s28, s49, 31
	v_add_co_u32 v2, vcc_lo, s49, v9
	v_add_co_ci_u32_e32 v3, vcc_lo, s28, v10, vcc_lo
	s_delay_alu instid0(VALU_DEP_1) | instskip(NEXT) | instid1(VALU_DEP_1)
	v_lshlrev_b64 v[2:3], 2, v[2:3]
	v_add_co_u32 v2, vcc_lo, s56, v2
	s_delay_alu instid0(VALU_DEP_2)
	v_add_co_ci_u32_e32 v3, vcc_lo, s19, v3, vcc_lo
	global_load_b32 v2, v[2:3], off
.LBB2_33:                               ;   in Loop: Header=BB2_22 Depth=1
	s_or_b32 exec_lo, exec_lo, s27
	s_waitcnt vmcnt(0)
	ds_store_b32 v26, v2 offset:4
	s_and_saveexec_b32 s27, s5
	s_cbranch_execz .LBB2_35
; %bb.34:                               ;   in Loop: Header=BB2_22 Depth=1
	s_ashr_i32 s28, s49, 31
	v_add_co_u32 v1, vcc_lo, s49, v9
	v_add_co_ci_u32_e32 v2, vcc_lo, s28, v10, vcc_lo
	s_delay_alu instid0(VALU_DEP_1) | instskip(NEXT) | instid1(VALU_DEP_1)
	v_lshlrev_b64 v[1:2], 2, v[1:2]
	v_add_co_u32 v1, vcc_lo, s57, v1
	s_delay_alu instid0(VALU_DEP_2)
	v_add_co_ci_u32_e32 v2, vcc_lo, s58, v2, vcc_lo
	global_load_b32 v1, v[1:2], off
.LBB2_35:                               ;   in Loop: Header=BB2_22 Depth=1
	s_or_b32 exec_lo, exec_lo, s27
	v_dual_mov_b32 v2, 0 :: v_dual_mov_b32 v3, 0
	s_waitcnt vmcnt(0)
	ds_store_b32 v26, v1 offset:16388
	s_and_saveexec_b32 s27, s6
	s_cbranch_execz .LBB2_37
; %bb.36:                               ;   in Loop: Header=BB2_22 Depth=1
	s_ashr_i32 s28, s49, 31
	v_add_co_u32 v3, vcc_lo, s49, v9
	v_add_co_ci_u32_e32 v4, vcc_lo, s28, v10, vcc_lo
	s_delay_alu instid0(VALU_DEP_1) | instskip(NEXT) | instid1(VALU_DEP_1)
	v_lshlrev_b64 v[3:4], 2, v[3:4]
	v_add_co_u32 v3, vcc_lo, s59, v3
	s_delay_alu instid0(VALU_DEP_2)
	v_add_co_ci_u32_e32 v4, vcc_lo, s60, v4, vcc_lo
	global_load_b32 v3, v[3:4], off
.LBB2_37:                               ;   in Loop: Header=BB2_22 Depth=1
	s_or_b32 exec_lo, exec_lo, s27
	s_waitcnt vmcnt(0)
	ds_store_b32 v26, v3 offset:8
	s_and_saveexec_b32 s27, s6
	s_cbranch_execz .LBB2_39
; %bb.38:                               ;   in Loop: Header=BB2_22 Depth=1
	s_ashr_i32 s28, s49, 31
	v_add_co_u32 v1, vcc_lo, s49, v9
	v_add_co_ci_u32_e32 v2, vcc_lo, s28, v10, vcc_lo
	s_delay_alu instid0(VALU_DEP_1) | instskip(NEXT) | instid1(VALU_DEP_1)
	v_lshlrev_b64 v[1:2], 2, v[1:2]
	v_add_co_u32 v1, vcc_lo, s61, v1
	s_delay_alu instid0(VALU_DEP_2)
	v_add_co_ci_u32_e32 v2, vcc_lo, s62, v2, vcc_lo
	global_load_b32 v2, v[1:2], off
.LBB2_39:                               ;   in Loop: Header=BB2_22 Depth=1
	s_or_b32 exec_lo, exec_lo, s27
	v_mov_b32_e32 v1, 0
	v_mov_b32_e32 v3, 0
	s_waitcnt vmcnt(0)
	ds_store_b32 v26, v2 offset:16392
	s_and_saveexec_b32 s27, s7
	s_cbranch_execz .LBB2_41
; %bb.40:                               ;   in Loop: Header=BB2_22 Depth=1
	s_ashr_i32 s28, s49, 31
	v_add_co_u32 v2, vcc_lo, s49, v9
	v_add_co_ci_u32_e32 v3, vcc_lo, s28, v10, vcc_lo
	s_delay_alu instid0(VALU_DEP_1) | instskip(NEXT) | instid1(VALU_DEP_1)
	v_lshlrev_b64 v[2:3], 2, v[2:3]
	v_add_co_u32 v2, vcc_lo, s63, v2
	s_delay_alu instid0(VALU_DEP_2)
	v_add_co_ci_u32_e32 v3, vcc_lo, s64, v3, vcc_lo
	global_load_b32 v3, v[2:3], off
.LBB2_41:                               ;   in Loop: Header=BB2_22 Depth=1
	s_or_b32 exec_lo, exec_lo, s27
	s_waitcnt vmcnt(0)
	ds_store_b32 v26, v3 offset:12
	s_and_saveexec_b32 s27, s7
	s_cbranch_execz .LBB2_43
; %bb.42:                               ;   in Loop: Header=BB2_22 Depth=1
	s_ashr_i32 s28, s49, 31
	v_add_co_u32 v1, vcc_lo, s49, v9
	v_add_co_ci_u32_e32 v2, vcc_lo, s28, v10, vcc_lo
	s_delay_alu instid0(VALU_DEP_1) | instskip(NEXT) | instid1(VALU_DEP_1)
	v_lshlrev_b64 v[1:2], 2, v[1:2]
	v_add_co_u32 v1, vcc_lo, s65, v1
	s_delay_alu instid0(VALU_DEP_2)
	v_add_co_ci_u32_e32 v2, vcc_lo, s66, v2, vcc_lo
	global_load_b32 v1, v[1:2], off
.LBB2_43:                               ;   in Loop: Header=BB2_22 Depth=1
	s_or_b32 exec_lo, exec_lo, s27
	s_waitcnt vmcnt(0)
	ds_store_b32 v26, v1 offset:16396
	s_waitcnt lgkmcnt(0)
	s_barrier
	buffer_gl0_inv
	global_load_b32 v15, v24, s[20:21]
	ds_load_2addr_b32 v[1:2], v31 offset1:1
	ds_load_2addr_b32 v[3:4], v19 offset0:2 offset1:3
	ds_load_2addr_b32 v[5:6], v26 offset1:1
	ds_load_2addr_b32 v[7:8], v26 offset0:2 offset1:3
	ds_load_2addr_b32 v[11:12], v17 offset0:8 offset1:9
	;; [unrolled: 1-line block ×3, first 2 shown]
	s_add_i32 s27, s48, 0
	s_delay_alu instid0(SALU_CYCLE_1)
	v_add_nc_u32_e64 v34, 0x9000, s27
	s_waitcnt lgkmcnt(3)
	v_dual_mul_f32 v6, v2, v6 :: v_dual_mul_f32 v5, v1, v5
	s_waitcnt vmcnt(0)
	v_mul_f32_e32 v32, v2, v15
	v_mul_f32_e32 v33, v3, v15
	v_mul_f32_e32 v16, v1, v15
	v_mul_f32_e32 v15, v4, v15
	s_waitcnt lgkmcnt(2)
	v_dual_mul_f32 v3, v3, v7 :: v_dual_mul_f32 v32, 0x3fb8aa3b, v32
	s_delay_alu instid0(VALU_DEP_3) | instskip(SKIP_2) | instid1(VALU_DEP_3)
	v_dual_mul_f32 v35, 0x3fb8aa3b, v33 :: v_dual_mul_f32 v16, 0x3fb8aa3b, v16
	s_waitcnt lgkmcnt(1)
	v_dual_mul_f32 v2, v11, v5 :: v_dual_mul_f32 v5, 0x3fb8aa3b, v15
	v_exp_f32_e32 v33, v32
	s_delay_alu instid0(VALU_DEP_2)
	v_exp_f32_e32 v35, v35
	v_exp_f32_e32 v1, v16
	s_waitcnt lgkmcnt(0)
	v_dual_mul_f32 v15, v12, v6 :: v_dual_mul_f32 v16, v13, v3
	v_mul_f32_e32 v6, v4, v8
	v_exp_f32_e32 v32, v5
	ds_load_2addr_b32 v[11:12], v34 offset0:8 offset1:16
	v_fma_f32 v4, v2, v33, v15
	v_dual_mul_f32 v3, v1, v33 :: v_dual_mul_f32 v34, v14, v6
	s_delay_alu instid0(VALU_DEP_2) | instskip(NEXT) | instid1(VALU_DEP_2)
	v_fma_f32 v6, v4, v35, v16
	v_mul_f32_e32 v5, v3, v35
	s_delay_alu instid0(VALU_DEP_2) | instskip(NEXT) | instid1(VALU_DEP_1)
	v_fma_f32 v8, v6, v32, v34
	v_dual_mul_f32 v7, v5, v32 :: v_dual_mov_b32 v36, v8
	v_mov_b32_dpp v39, v8 row_shr:1 row_mask:0xf bank_mask:0xf
	s_delay_alu instid0(VALU_DEP_2)
	v_mov_b32_dpp v38, v7 row_shr:1 row_mask:0xf bank_mask:0xf
	v_dual_mov_b32 v37, v7 :: v_dual_mov_b32 v14, v8
	v_mov_b32_e32 v13, v7
	s_and_saveexec_b32 s28, s11
; %bb.44:                               ;   in Loop: Header=BB2_22 Depth=1
	s_delay_alu instid0(VALU_DEP_3) | instskip(NEXT) | instid1(VALU_DEP_1)
	v_dual_mov_b32 v36, v8 :: v_dual_mul_f32 v37, v7, v38
	v_dual_fmac_f32 v36, v7, v39 :: v_dual_mov_b32 v13, v37
	s_delay_alu instid0(VALU_DEP_1)
	v_mov_b32_e32 v14, v36
; %bb.45:                               ;   in Loop: Header=BB2_22 Depth=1
	s_or_b32 exec_lo, exec_lo, s28
	s_delay_alu instid0(VALU_DEP_2) | instskip(NEXT) | instid1(VALU_DEP_2)
	v_mov_b32_dpp v38, v13 row_shr:2 row_mask:0xf bank_mask:0xf
	v_mov_b32_dpp v39, v14 row_shr:2 row_mask:0xf bank_mask:0xf
	s_and_saveexec_b32 s28, s12
; %bb.46:                               ;   in Loop: Header=BB2_22 Depth=1
	s_delay_alu instid0(VALU_DEP_1) | instskip(NEXT) | instid1(VALU_DEP_1)
	v_fmac_f32_e32 v36, v37, v39
	v_dual_mul_f32 v13, v37, v38 :: v_dual_mov_b32 v14, v36
	s_delay_alu instid0(VALU_DEP_1)
	v_mov_b32_e32 v37, v13
; %bb.47:                               ;   in Loop: Header=BB2_22 Depth=1
	s_or_b32 exec_lo, exec_lo, s28
	v_mov_b32_dpp v38, v13 row_shr:4 row_mask:0xf bank_mask:0xf
	s_delay_alu instid0(VALU_DEP_3)
	v_mov_b32_dpp v39, v14 row_shr:4 row_mask:0xf bank_mask:0xf
	s_and_saveexec_b32 s28, s13
; %bb.48:                               ;   in Loop: Header=BB2_22 Depth=1
	s_delay_alu instid0(VALU_DEP_1) | instskip(NEXT) | instid1(VALU_DEP_1)
	v_fmac_f32_e32 v36, v37, v39
	v_dual_mul_f32 v13, v37, v38 :: v_dual_mov_b32 v14, v36
	s_delay_alu instid0(VALU_DEP_1)
	v_mov_b32_e32 v37, v13
; %bb.49:                               ;   in Loop: Header=BB2_22 Depth=1
	s_or_b32 exec_lo, exec_lo, s28
	v_mov_b32_dpp v38, v13 row_shr:8 row_mask:0xf bank_mask:0xf
	s_delay_alu instid0(VALU_DEP_3)
	v_mov_b32_dpp v39, v14 row_shr:8 row_mask:0xf bank_mask:0xf
	s_and_saveexec_b32 s28, s14
; %bb.50:                               ;   in Loop: Header=BB2_22 Depth=1
	s_delay_alu instid0(VALU_DEP_1) | instskip(NEXT) | instid1(VALU_DEP_1)
	v_fmac_f32_e32 v36, v37, v39
	v_dual_mul_f32 v13, v37, v38 :: v_dual_mov_b32 v14, v36
	s_delay_alu instid0(VALU_DEP_1)
	v_mov_b32_e32 v37, v13
; %bb.51:                               ;   in Loop: Header=BB2_22 Depth=1
	s_or_b32 exec_lo, exec_lo, s28
	ds_swizzle_b32 v38, v13 offset:swizzle(BROADCAST,32,15)
	ds_swizzle_b32 v39, v14 offset:swizzle(BROADCAST,32,15)
	s_and_saveexec_b32 s28, s16
	s_cbranch_execz .LBB2_53
; %bb.52:                               ;   in Loop: Header=BB2_22 Depth=1
	s_waitcnt lgkmcnt(0)
	v_fmac_f32_e32 v36, v37, v39
	s_delay_alu instid0(VALU_DEP_1) | instskip(NEXT) | instid1(VALU_DEP_1)
	v_dual_mul_f32 v37, v37, v38 :: v_dual_mov_b32 v14, v36
	v_mov_b32_e32 v13, v37
.LBB2_53:                               ;   in Loop: Header=BB2_22 Depth=1
	s_or_b32 exec_lo, exec_lo, s28
	s_and_saveexec_b32 s28, s9
	s_cbranch_execz .LBB2_55
; %bb.54:                               ;   in Loop: Header=BB2_22 Depth=1
	ds_store_2addr_b32 v28, v13, v14 offset1:1
.LBB2_55:                               ;   in Loop: Header=BB2_22 Depth=1
	s_or_b32 exec_lo, exec_lo, s28
	s_waitcnt lgkmcnt(0)
	s_barrier
	buffer_gl0_inv
	s_and_saveexec_b32 s28, s0
	s_cbranch_execz .LBB2_59
; %bb.56:                               ;   in Loop: Header=BB2_22 Depth=1
	ds_load_2addr_b32 v[13:14], v22 offset1:1
	s_waitcnt lgkmcnt(0)
	v_mov_b32_dpp v38, v13 row_shr:1 row_mask:0xf bank_mask:0xf
	v_mov_b32_dpp v39, v14 row_shr:1 row_mask:0xf bank_mask:0xf
	s_and_saveexec_b32 s29, s17
; %bb.57:                               ;   in Loop: Header=BB2_22 Depth=1
	s_delay_alu instid0(VALU_DEP_1) | instskip(NEXT) | instid1(VALU_DEP_3)
	v_fma_f32 v14, v13, v39, v14
	v_mul_f32_e32 v13, v13, v38
; %bb.58:                               ;   in Loop: Header=BB2_22 Depth=1
	s_or_b32 exec_lo, exec_lo, s29
	s_delay_alu instid0(VALU_DEP_1) | instskip(NEXT) | instid1(VALU_DEP_3)
	v_mov_b32_dpp v38, v13 row_shr:2 row_mask:0xf bank_mask:0xf
	v_mov_b32_dpp v39, v14 row_shr:2 row_mask:0xf bank_mask:0xf
	s_delay_alu instid0(VALU_DEP_2) | instskip(NEXT) | instid1(VALU_DEP_2)
	v_mul_f32_e32 v38, v13, v38
	v_fma_f32 v39, v13, v39, v14
	s_delay_alu instid0(VALU_DEP_2) | instskip(NEXT) | instid1(VALU_DEP_2)
	v_cndmask_b32_e64 v13, v13, v38, s18
	v_cndmask_b32_e64 v14, v14, v39, s18
	ds_store_2addr_b32 v22, v13, v14 offset1:1
.LBB2_59:                               ;   in Loop: Header=BB2_22 Depth=1
	s_or_b32 exec_lo, exec_lo, s28
	s_waitcnt lgkmcnt(0)
	s_barrier
	buffer_gl0_inv
                                        ; implicit-def: $vgpr14
	s_and_saveexec_b32 s28, s1
	s_cbranch_execz .LBB2_61
; %bb.60:                               ;   in Loop: Header=BB2_22 Depth=1
	ds_load_2addr_b32 v[13:14], v30 offset1:1
	s_waitcnt lgkmcnt(0)
	v_mul_f32_e32 v38, v37, v13
	s_delay_alu instid0(VALU_DEP_1)
	v_dual_fmac_f32 v36, v37, v14 :: v_dual_mov_b32 v37, v38
.LBB2_61:                               ;   in Loop: Header=BB2_22 Depth=1
	s_or_b32 exec_lo, exec_lo, s28
	ds_bpermute_b32 v37, v29, v37
	ds_bpermute_b32 v36, v29, v36
	s_and_saveexec_b32 s28, s2
	s_cbranch_execz .LBB2_63
; %bb.62:                               ;   in Loop: Header=BB2_22 Depth=1
	s_waitcnt lgkmcnt(0)
	v_cndmask_b32_e64 v3, v36, v14, s10
	v_cndmask_b32_e64 v4, v37, v13, s10
	;;#ASMSTART
	;;#ASMEND
	s_delay_alu instid0(VALU_DEP_2) | instskip(NEXT) | instid1(VALU_DEP_1)
	v_fmac_f32_e32 v2, v1, v3
	v_fmac_f32_e32 v15, v2, v33
	s_delay_alu instid0(VALU_DEP_1) | instskip(NEXT) | instid1(VALU_DEP_1)
	v_dual_mul_f32 v1, v1, v4 :: v_dual_fmac_f32 v16, v15, v35
	v_dual_fmac_f32 v34, v16, v32 :: v_dual_mul_f32 v3, v1, v33
	v_mov_b32_e32 v4, v15
	v_mov_b32_e32 v6, v16
	s_delay_alu instid0(VALU_DEP_3) | instskip(NEXT) | instid1(VALU_DEP_1)
	v_dual_mov_b32 v8, v34 :: v_dual_mul_f32 v5, v3, v35
	v_mul_f32_e32 v7, v5, v32
.LBB2_63:                               ;   in Loop: Header=BB2_22 Depth=1
	s_or_b32 exec_lo, exec_lo, s28
	s_clause 0x1
	scratch_store_b128 off, v[1:4], off
	scratch_store_b128 off, v[5:8], off offset:16
	s_waitcnt lgkmcnt(0)
	s_waitcnt_vscnt null, 0x0
	s_barrier
	buffer_gl0_inv
	s_clause 0x1
	scratch_load_b128 v[1:4], off, off
	scratch_load_b128 v[5:8], off, off offset:16
	v_add_nc_u32_e32 v13, 0x4000, v26
	v_add_nc_u32_e32 v14, 0x4008, v26
	ds_load_2addr_b32 v[15:16], v13 offset1:1
	ds_load_2addr_b32 v[13:14], v14 offset1:1
	s_and_saveexec_b32 s28, s8
	s_cbranch_execz .LBB2_21
; %bb.64:                               ;   in Loop: Header=BB2_22 Depth=1
	scratch_load_b64 v[32:33], v25, off
	s_add_i32 s68, s15, s67
	v_add_nc_u32_e64 v34, 0x9000, s27
	s_ashr_i32 s69, s68, 31
	s_delay_alu instid0(SALU_CYCLE_1) | instskip(NEXT) | instid1(SALU_CYCLE_1)
	s_lshl_b64 s[68:69], s[68:69], 2
	s_add_u32 s70, s40, s68
	s_addc_u32 s71, s41, s69
	s_add_u32 s68, s42, s68
	s_addc_u32 s69, s43, s69
	s_waitcnt vmcnt(0)
	v_mul_f32_e32 v11, v11, v32
	v_fmac_f32_e32 v33, v12, v32
	s_clause 0x1
	global_store_b32 v24, v11, s[70:71]
	global_store_b32 v24, v33, s[68:69]
	ds_store_2addr_b32 v34, v11, v33 offset0:8 offset1:16
	s_branch .LBB2_21
.LBB2_65:                               ;   in Loop: Header=BB2_22 Depth=1
                                        ; implicit-def: $sgpr28_sgpr29
                                        ; implicit-def: $vgpr1
	s_branch .LBB2_25
.LBB2_66:
	s_add_u32 s0, s30, s34
	s_addc_u32 s1, s31, s35
	s_add_u32 s2, s0, s44
	s_addc_u32 s3, s1, s45
	v_lshlrev_b64 v[1:2], 2, v[9:10]
	s_add_u32 s0, s38, s34
	s_addc_u32 s1, s39, s35
	s_add_u32 s0, s0, s44
	s_addc_u32 s1, s1, s45
	s_and_saveexec_b32 s8, s4
	s_cbranch_execnz .LBB2_74
; %bb.67:
	s_or_b32 exec_lo, exec_lo, s8
	s_and_saveexec_b32 s4, s5
	s_cbranch_execnz .LBB2_75
.LBB2_68:
	s_or_b32 exec_lo, exec_lo, s4
	s_and_saveexec_b32 s4, s6
	s_cbranch_execnz .LBB2_76
.LBB2_69:
	s_or_b32 exec_lo, exec_lo, s4
	s_and_saveexec_b32 s4, s7
	s_cbranch_execz .LBB2_71
.LBB2_70:
	v_add_co_u32 v3, vcc_lo, s2, v1
	v_add_co_ci_u32_e32 v4, vcc_lo, s3, v2, vcc_lo
	global_load_b32 v3, v[3:4], off offset:12
	s_waitcnt vmcnt(0)
	v_mul_f32_e32 v4, 0xbfb8aa3b, v3
	s_delay_alu instid0(VALU_DEP_1) | instskip(SKIP_2) | instid1(VALU_DEP_1)
	v_exp_f32_e32 v4, v4
	s_waitcnt_depctr 0xfff
	v_add_f32_e32 v4, 1.0, v4
	v_div_scale_f32 v5, null, v4, v4, v3
	v_div_scale_f32 v8, vcc_lo, v3, v4, v3
	s_delay_alu instid0(VALU_DEP_2) | instskip(SKIP_2) | instid1(VALU_DEP_1)
	v_rcp_f32_e32 v6, v5
	s_waitcnt_depctr 0xfff
	v_fma_f32 v7, -v5, v6, 1.0
	v_fmac_f32_e32 v6, v7, v6
	s_delay_alu instid0(VALU_DEP_1) | instskip(NEXT) | instid1(VALU_DEP_1)
	v_mul_f32_e32 v7, v8, v6
	v_fma_f32 v9, -v5, v7, v8
	s_delay_alu instid0(VALU_DEP_1) | instskip(NEXT) | instid1(VALU_DEP_1)
	v_fmac_f32_e32 v7, v9, v6
	v_fma_f32 v5, -v5, v7, v8
	s_delay_alu instid0(VALU_DEP_1) | instskip(SKIP_2) | instid1(VALU_DEP_3)
	v_div_fmas_f32 v5, v5, v6, v7
	v_add_co_u32 v1, vcc_lo, s0, v1
	v_add_co_ci_u32_e32 v2, vcc_lo, s1, v2, vcc_lo
	v_div_fixup_f32 v3, v5, v4, v3
	s_delay_alu instid0(VALU_DEP_1)
	v_mul_f32_e32 v3, v20, v3
	global_store_b32 v[1:2], v3, off offset:12
.LBB2_71:
	s_or_b32 exec_lo, exec_lo, s4
	s_add_i32 s33, s33, -1
	v_cmp_gt_u32_e32 vcc_lo, 8, v0
	s_cmp_eq_u32 s15, s33
	s_cselect_b32 s0, -1, 0
	s_delay_alu instid0(SALU_CYCLE_1) | instskip(NEXT) | instid1(SALU_CYCLE_1)
	s_and_b32 s0, vcc_lo, s0
	s_and_saveexec_b32 s1, s0
	s_cbranch_execz .LBB2_73
; %bb.72:
	v_lshl_add_u32 v1, v0, 2, 0
	v_add_nc_u32_e32 v0, s46, v0
	ds_load_b32 v2, v1 offset:36928
	v_ashrrev_i32_e32 v1, 31, v0
	s_delay_alu instid0(VALU_DEP_1) | instskip(NEXT) | instid1(VALU_DEP_1)
	v_lshlrev_b64 v[0:1], 2, v[0:1]
	v_add_co_u32 v0, vcc_lo, s36, v0
	s_delay_alu instid0(VALU_DEP_2)
	v_add_co_ci_u32_e32 v1, vcc_lo, s37, v1, vcc_lo
	s_waitcnt lgkmcnt(0)
	global_store_b32 v[0:1], v2, off
.LBB2_73:
	s_nop 0
	s_sendmsg sendmsg(MSG_DEALLOC_VGPRS)
	s_endpgm
.LBB2_74:
	v_add_co_u32 v3, vcc_lo, s2, v1
	v_add_co_ci_u32_e32 v4, vcc_lo, s3, v2, vcc_lo
	global_load_b32 v3, v[3:4], off
	s_waitcnt vmcnt(0)
	v_mul_f32_e32 v4, 0xbfb8aa3b, v3
	s_delay_alu instid0(VALU_DEP_1) | instskip(SKIP_2) | instid1(VALU_DEP_1)
	v_exp_f32_e32 v4, v4
	s_waitcnt_depctr 0xfff
	v_add_f32_e32 v4, 1.0, v4
	v_div_scale_f32 v5, null, v4, v4, v3
	v_div_scale_f32 v8, vcc_lo, v3, v4, v3
	s_delay_alu instid0(VALU_DEP_2) | instskip(SKIP_2) | instid1(VALU_DEP_1)
	v_rcp_f32_e32 v6, v5
	s_waitcnt_depctr 0xfff
	v_fma_f32 v7, -v5, v6, 1.0
	v_fmac_f32_e32 v6, v7, v6
	s_delay_alu instid0(VALU_DEP_1) | instskip(NEXT) | instid1(VALU_DEP_1)
	v_mul_f32_e32 v7, v8, v6
	v_fma_f32 v9, -v5, v7, v8
	s_delay_alu instid0(VALU_DEP_1) | instskip(NEXT) | instid1(VALU_DEP_1)
	v_fmac_f32_e32 v7, v9, v6
	v_fma_f32 v5, -v5, v7, v8
	s_delay_alu instid0(VALU_DEP_1) | instskip(NEXT) | instid1(VALU_DEP_1)
	v_div_fmas_f32 v5, v5, v6, v7
	v_div_fixup_f32 v3, v5, v4, v3
	s_delay_alu instid0(VALU_DEP_1)
	v_mul_f32_e32 v5, v27, v3
	v_add_co_u32 v3, vcc_lo, s0, v1
	v_add_co_ci_u32_e32 v4, vcc_lo, s1, v2, vcc_lo
	global_store_b32 v[3:4], v5, off
	s_or_b32 exec_lo, exec_lo, s8
	s_and_saveexec_b32 s4, s5
	s_cbranch_execz .LBB2_68
.LBB2_75:
	v_add_co_u32 v3, vcc_lo, s2, v1
	v_add_co_ci_u32_e32 v4, vcc_lo, s3, v2, vcc_lo
	global_load_b32 v3, v[3:4], off offset:4
	s_waitcnt vmcnt(0)
	v_mul_f32_e32 v4, 0xbfb8aa3b, v3
	s_delay_alu instid0(VALU_DEP_1) | instskip(SKIP_2) | instid1(VALU_DEP_1)
	v_exp_f32_e32 v4, v4
	s_waitcnt_depctr 0xfff
	v_add_f32_e32 v4, 1.0, v4
	v_div_scale_f32 v5, null, v4, v4, v3
	v_div_scale_f32 v8, vcc_lo, v3, v4, v3
	s_delay_alu instid0(VALU_DEP_2) | instskip(SKIP_2) | instid1(VALU_DEP_1)
	v_rcp_f32_e32 v6, v5
	s_waitcnt_depctr 0xfff
	v_fma_f32 v7, -v5, v6, 1.0
	v_fmac_f32_e32 v6, v7, v6
	s_delay_alu instid0(VALU_DEP_1) | instskip(NEXT) | instid1(VALU_DEP_1)
	v_mul_f32_e32 v7, v8, v6
	v_fma_f32 v9, -v5, v7, v8
	s_delay_alu instid0(VALU_DEP_1) | instskip(NEXT) | instid1(VALU_DEP_1)
	v_fmac_f32_e32 v7, v9, v6
	v_fma_f32 v5, -v5, v7, v8
	s_delay_alu instid0(VALU_DEP_1) | instskip(NEXT) | instid1(VALU_DEP_1)
	v_div_fmas_f32 v5, v5, v6, v7
	v_div_fixup_f32 v3, v5, v4, v3
	s_delay_alu instid0(VALU_DEP_1)
	v_mul_f32_e32 v5, v23, v3
	v_add_co_u32 v3, vcc_lo, s0, v1
	v_add_co_ci_u32_e32 v4, vcc_lo, s1, v2, vcc_lo
	global_store_b32 v[3:4], v5, off offset:4
	s_or_b32 exec_lo, exec_lo, s4
	s_and_saveexec_b32 s4, s6
	s_cbranch_execz .LBB2_69
.LBB2_76:
	v_add_co_u32 v3, vcc_lo, s2, v1
	v_add_co_ci_u32_e32 v4, vcc_lo, s3, v2, vcc_lo
	global_load_b32 v3, v[3:4], off offset:8
	s_waitcnt vmcnt(0)
	v_mul_f32_e32 v4, 0xbfb8aa3b, v3
	s_delay_alu instid0(VALU_DEP_1) | instskip(SKIP_2) | instid1(VALU_DEP_1)
	v_exp_f32_e32 v4, v4
	s_waitcnt_depctr 0xfff
	v_add_f32_e32 v4, 1.0, v4
	v_div_scale_f32 v5, null, v4, v4, v3
	v_div_scale_f32 v8, vcc_lo, v3, v4, v3
	s_delay_alu instid0(VALU_DEP_2) | instskip(SKIP_2) | instid1(VALU_DEP_1)
	v_rcp_f32_e32 v6, v5
	s_waitcnt_depctr 0xfff
	v_fma_f32 v7, -v5, v6, 1.0
	v_fmac_f32_e32 v6, v7, v6
	s_delay_alu instid0(VALU_DEP_1) | instskip(NEXT) | instid1(VALU_DEP_1)
	v_mul_f32_e32 v7, v8, v6
	v_fma_f32 v9, -v5, v7, v8
	s_delay_alu instid0(VALU_DEP_1) | instskip(NEXT) | instid1(VALU_DEP_1)
	v_fmac_f32_e32 v7, v9, v6
	v_fma_f32 v5, -v5, v7, v8
	s_delay_alu instid0(VALU_DEP_1) | instskip(NEXT) | instid1(VALU_DEP_1)
	v_div_fmas_f32 v5, v5, v6, v7
	v_div_fixup_f32 v3, v5, v4, v3
	s_delay_alu instid0(VALU_DEP_1)
	v_mul_f32_e32 v5, v21, v3
	v_add_co_u32 v3, vcc_lo, s0, v1
	v_add_co_ci_u32_e32 v4, vcc_lo, s1, v2, vcc_lo
	global_store_b32 v[3:4], v5, off offset:8
	s_or_b32 exec_lo, exec_lo, s4
	s_and_saveexec_b32 s4, s7
	s_cbranch_execnz .LBB2_70
	s_branch .LBB2_71
	.section	.rodata,"a",@progbits
	.p2align	6, 0x0
	.amdhsa_kernel _Z26selective_scan_vllm_kernelI18SSMFwdKernelTraitsILi128ELi4ELi8ELb1ELb1ELb0EEEv13SSMParamsBase
		.amdhsa_group_segment_fixed_size 0
		.amdhsa_private_segment_fixed_size 48
		.amdhsa_kernarg_size 144
		.amdhsa_user_sgpr_count 14
		.amdhsa_user_sgpr_dispatch_ptr 0
		.amdhsa_user_sgpr_queue_ptr 0
		.amdhsa_user_sgpr_kernarg_segment_ptr 1
		.amdhsa_user_sgpr_dispatch_id 0
		.amdhsa_user_sgpr_private_segment_size 0
		.amdhsa_wavefront_size32 1
		.amdhsa_uses_dynamic_stack 0
		.amdhsa_enable_private_segment 1
		.amdhsa_system_sgpr_workgroup_id_x 1
		.amdhsa_system_sgpr_workgroup_id_y 1
		.amdhsa_system_sgpr_workgroup_id_z 0
		.amdhsa_system_sgpr_workgroup_info 0
		.amdhsa_system_vgpr_workitem_id 0
		.amdhsa_next_free_vgpr 40
		.amdhsa_next_free_sgpr 72
		.amdhsa_reserve_vcc 1
		.amdhsa_float_round_mode_32 0
		.amdhsa_float_round_mode_16_64 0
		.amdhsa_float_denorm_mode_32 3
		.amdhsa_float_denorm_mode_16_64 3
		.amdhsa_dx10_clamp 1
		.amdhsa_ieee_mode 1
		.amdhsa_fp16_overflow 0
		.amdhsa_workgroup_processor_mode 1
		.amdhsa_memory_ordered 1
		.amdhsa_forward_progress 0
		.amdhsa_shared_vgpr_count 0
		.amdhsa_exception_fp_ieee_invalid_op 0
		.amdhsa_exception_fp_denorm_src 0
		.amdhsa_exception_fp_ieee_div_zero 0
		.amdhsa_exception_fp_ieee_overflow 0
		.amdhsa_exception_fp_ieee_underflow 0
		.amdhsa_exception_fp_ieee_inexact 0
		.amdhsa_exception_int_div_zero 0
	.end_amdhsa_kernel
	.section	.text._Z26selective_scan_vllm_kernelI18SSMFwdKernelTraitsILi128ELi4ELi8ELb1ELb1ELb0EEEv13SSMParamsBase,"axG",@progbits,_Z26selective_scan_vllm_kernelI18SSMFwdKernelTraitsILi128ELi4ELi8ELb1ELb1ELb0EEEv13SSMParamsBase,comdat
.Lfunc_end2:
	.size	_Z26selective_scan_vllm_kernelI18SSMFwdKernelTraitsILi128ELi4ELi8ELb1ELb1ELb0EEEv13SSMParamsBase, .Lfunc_end2-_Z26selective_scan_vllm_kernelI18SSMFwdKernelTraitsILi128ELi4ELi8ELb1ELb1ELb0EEEv13SSMParamsBase
                                        ; -- End function
	.section	.AMDGPU.csdata,"",@progbits
; Kernel info:
; codeLenInByte = 4884
; NumSgprs: 74
; NumVgprs: 40
; ScratchSize: 48
; MemoryBound: 0
; FloatMode: 240
; IeeeMode: 1
; LDSByteSize: 0 bytes/workgroup (compile time only)
; SGPRBlocks: 9
; VGPRBlocks: 4
; NumSGPRsForWavesPerEU: 74
; NumVGPRsForWavesPerEU: 40
; Occupancy: 16
; WaveLimiterHint : 0
; COMPUTE_PGM_RSRC2:SCRATCH_EN: 1
; COMPUTE_PGM_RSRC2:USER_SGPR: 14
; COMPUTE_PGM_RSRC2:TRAP_HANDLER: 0
; COMPUTE_PGM_RSRC2:TGID_X_EN: 1
; COMPUTE_PGM_RSRC2:TGID_Y_EN: 1
; COMPUTE_PGM_RSRC2:TGID_Z_EN: 0
; COMPUTE_PGM_RSRC2:TIDIG_COMP_CNT: 0
	.section	.text._Z26selective_scan_vllm_kernelI18SSMFwdKernelTraitsILi128ELi4ELi8ELb1ELb0ELb1EEEv13SSMParamsBase,"axG",@progbits,_Z26selective_scan_vllm_kernelI18SSMFwdKernelTraitsILi128ELi4ELi8ELb1ELb0ELb1EEEv13SSMParamsBase,comdat
	.protected	_Z26selective_scan_vllm_kernelI18SSMFwdKernelTraitsILi128ELi4ELi8ELb1ELb0ELb1EEEv13SSMParamsBase ; -- Begin function _Z26selective_scan_vllm_kernelI18SSMFwdKernelTraitsILi128ELi4ELi8ELb1ELb0ELb1EEEv13SSMParamsBase
	.globl	_Z26selective_scan_vllm_kernelI18SSMFwdKernelTraitsILi128ELi4ELi8ELb1ELb0ELb1EEEv13SSMParamsBase
	.p2align	8
	.type	_Z26selective_scan_vllm_kernelI18SSMFwdKernelTraitsILi128ELi4ELi8ELb1ELb0ELb1EEEv13SSMParamsBase,@function
_Z26selective_scan_vllm_kernelI18SSMFwdKernelTraitsILi128ELi4ELi8ELb1ELb0ELb1EEEv13SSMParamsBase: ; @_Z26selective_scan_vllm_kernelI18SSMFwdKernelTraitsILi128ELi4ELi8ELb1ELb0ELb1EEEv13SSMParamsBase
; %bb.0:
	s_clause 0x5
	s_load_b32 s2, s[0:1], 0x4
	s_load_b32 s33, s[0:1], 0x10
	s_load_b512 s[16:31], s[0:1], 0x18
	s_load_b256 s[36:43], s[0:1], 0x58
	s_load_b64 s[48:49], s[0:1], 0x88
	s_load_b128 s[44:47], s[0:1], 0x78
	v_cmp_eq_u32_e64 s1, 0, v0
	s_abs_i32 s6, s14
	s_ashr_i32 s5, s14, 31
	s_mov_b32 s50, 0
	s_waitcnt lgkmcnt(0)
	s_abs_i32 s3, s2
	s_ashr_i32 s7, s2, 31
	v_cvt_f32_u32_e32 v1, s3
	s_sub_i32 s0, 0, s3
	s_delay_alu instid0(VALU_DEP_1) | instskip(SKIP_2) | instid1(VALU_DEP_1)
	v_rcp_iflag_f32_e32 v1, v1
	s_waitcnt_depctr 0xfff
	v_mul_f32_e32 v1, 0x4f7ffffe, v1
	v_cvt_u32_f32_e32 v1, v1
	s_delay_alu instid0(VALU_DEP_1) | instskip(NEXT) | instid1(VALU_DEP_1)
	v_readfirstlane_b32 s4, v1
	s_mul_i32 s0, s0, s4
	s_delay_alu instid0(SALU_CYCLE_1) | instskip(SKIP_2) | instid1(SALU_CYCLE_1)
	s_mul_hi_u32 s8, s4, s0
	v_cmp_ne_u32_e64 s0, 0, v0
	s_add_i32 s4, s4, s8
	s_mul_hi_u32 s4, s6, s4
	s_and_saveexec_b32 s8, s1
	s_cbranch_execz .LBB3_2
; %bb.1:
	v_dual_mov_b32 v1, 0x7f :: v_dual_mov_b32 v2, 3
	v_mov_b32_e32 v3, 0
	ds_store_b64 v3, v[1:2] offset:36960
.LBB3_2:
	s_or_b32 exec_lo, exec_lo, s8
	s_mul_i32 s8, s4, s3
	s_xor_b32 s5, s5, s7
	s_sub_i32 s6, s6, s8
	s_add_i32 s7, s4, 1
	s_sub_i32 s8, s6, s3
	s_cmp_ge_u32 s6, s3
	v_dual_mov_b32 v18, 0 :: v_dual_lshlrev_b32 v11, 2, v0
	s_cselect_b32 s4, s7, s4
	s_cselect_b32 s6, s8, s6
	s_add_i32 s7, s4, 1
	s_cmp_ge_u32 s6, s3
	s_waitcnt lgkmcnt(0)
	s_cselect_b32 s3, s7, s4
	s_lshl_b32 s13, s15, 9
	s_xor_b32 s3, s3, s5
	v_or_b32_e32 v1, s13, v11
	s_sub_i32 s51, s3, s5
	s_barrier
	s_mul_i32 s4, s51, s2
	s_mul_i32 s2, s51, s44
	s_sub_i32 s44, s14, s4
	s_ashr_i32 s3, s2, 31
	v_ashrrev_i32_e32 v2, 31, v1
	s_lshl_b64 s[34:35], s[2:3], 2
	s_mul_i32 s2, s44, s45
	s_add_u32 s4, s16, s34
	s_addc_u32 s5, s17, s35
	s_ashr_i32 s3, s2, 31
	v_lshlrev_b64 v[9:10], 2, v[1:2]
	s_lshl_b64 s[16:17], s[2:3], 2
	buffer_gl0_inv
	s_add_u32 s2, s4, s16
	s_addc_u32 s3, s5, s17
	s_add_u32 s4, s18, s34
	s_addc_u32 s5, s19, s35
	;; [unrolled: 2-line block ×3, first 2 shown]
	v_add_co_u32 v1, vcc_lo, s4, v9
	v_add_co_ci_u32_e32 v2, vcc_lo, s5, v10, vcc_lo
	v_add_co_u32 v5, vcc_lo, s2, v9
	v_add_co_ci_u32_e32 v6, vcc_lo, s3, v10, vcc_lo
	global_load_b128 v[1:4], v[1:2], off
	global_load_b128 v[5:8], v[5:6], off
	s_ashr_i32 s45, s44, 31
	s_mul_i32 s52, s14, s33
	s_lshl_b64 s[18:19], s[44:45], 2
	v_mbcnt_lo_u32_b32 v15, -1, 0
	s_add_u32 s6, s28, s18
	s_addc_u32 s7, s29, s19
	s_add_u32 s18, s26, s18
	s_load_b32 s14, s[6:7], 0x0
	v_lshlrev_b32_e32 v14, 4, v0
	v_and_b32_e32 v19, 16, v15
	v_and_b32_e32 v21, 3, v15
	s_addc_u32 s19, s27, s19
	ds_load_b64 v[12:13], v18 offset:36960
	v_or_b32_e32 v16, 31, v0
	v_lshrrev_b32_e32 v17, 2, v0
	s_mul_i32 s28, s51, s46
	s_mul_i32 s51, s51, s48
	v_add3_u32 v11, s28, s13, v11
	v_cmp_eq_u32_e64 s4, v16, v0
	v_cmp_gt_u32_e64 s2, 4, v0
	v_cmp_lt_u32_e64 s3, 31, v0
	v_lshl_add_u32 v20, v0, 3, 0
	v_cmp_eq_u32_e64 s5, 0, v15
	s_waitcnt lgkmcnt(0)
	v_cmp_eq_u32_e64 s13, v0, v12
	s_waitcnt vmcnt(1)
	v_dual_add_f32 v4, s14, v4 :: v_dual_add_f32 v1, s14, v1
	v_dual_add_f32 v3, s14, v3 :: v_dual_add_nc_u32 v22, 0, v14
	v_add3_u32 v23, 0, 32, v14
	v_add_f32_e32 v2, s14, v2
	v_add3_u32 v24, 0, 0x820, v14
	s_delay_alu instid0(VALU_DEP_4)
	v_add_nc_u32_e32 v26, 0x820, v22
	s_waitcnt vmcnt(0)
	ds_store_2addr_b32 v22, v5, v6 offset0:8 offset1:9
	ds_store_2addr_b32 v23, v7, v8 offset0:2 offset1:3
	ds_store_2addr_b32 v26, v1, v2 offset1:1
	ds_store_2addr_b32 v24, v3, v4 offset0:2 offset1:3
	s_waitcnt lgkmcnt(0)
	s_barrier
	buffer_gl0_inv
	s_load_b32 s26, s[18:19], 0x0
	ds_load_2addr_b32 v[1:2], v22 offset0:8 offset1:9
	ds_load_2addr_b32 v[3:4], v23 offset0:2 offset1:3
	v_add_nc_u32_e32 v16, -1, v15
	v_and_b32_e32 v14, 15, v15
	v_cmp_ne_u32_e64 s10, 0, v19
	s_lshl_b32 s18, s44, 3
	s_mul_i32 s14, s44, s49
	s_cmp_lg_u32 s15, 0
	v_lshlrev_b32_e32 v5, 3, v13
	s_cselect_b32 s28, -1, 0
	s_add_i32 s14, s14, s51
	s_ashr_i32 s29, s15, 31
	s_add_u32 s44, s40, -4
	s_addc_u32 s45, s41, -1
	s_add_u32 s46, s42, -4
	s_addc_u32 s48, s43, -1
	s_ashr_i32 s19, s18, 31
	v_cmp_ne_u32_e64 s11, 0, v21
	v_cmp_lt_u32_e64 s12, 1, v21
	v_add_nc_u32_e32 v28, 0x1020, v22
	s_waitcnt lgkmcnt(0)
	v_mul_f32_e32 v25, s26, v2
	v_mul_f32_e32 v19, s26, v4
	v_cmp_gt_i32_e32 vcc_lo, 0, v16
	v_and_b32_e32 v17, 24, v17
	v_cmp_ne_u32_e64 s6, 0, v14
	v_cmp_lt_u32_e64 s7, 1, v14
	v_cmp_lt_u32_e64 s8, 3, v14
	v_cmp_lt_u32_e64 s9, 7, v14
	v_dual_cndmask_b32 v14, v16, v15 :: v_dual_add_nc_u32 v27, 0, v17
	v_add_nc_u32_e32 v32, 0, v5
	s_lshl_b64 s[18:19], s[18:19], 2
	s_delay_alu instid0(VALU_DEP_2) | instskip(NEXT) | instid1(VALU_DEP_3)
	v_dual_mul_f32 v30, s26, v1 :: v_dual_lshlrev_b32 v29, 2, v14
	v_add_nc_u32_e32 v31, -8, v27
	v_mul_f32_e32 v21, s26, v3
	s_lshl_b32 s49, s52, 3
	s_add_u32 s18, s20, s18
	s_addc_u32 s19, s21, s19
	s_add_i32 s51, 0, 0x9020
	s_mov_b32 s20, s14
	s_branch .LBB3_4
.LBB3_3:                                ;   in Loop: Header=BB3_4 Depth=1
	s_or_b32 exec_lo, exec_lo, s21
	s_waitcnt vmcnt(1)
	v_fma_f32 v5, v13, v5, v6
	s_waitcnt vmcnt(0)
	v_fma_f32 v1, v13, v1, v2
	v_fmac_f32_e32 v8, v13, v7
	v_fmac_f32_e32 v4, v13, v3
	s_add_i32 s51, s51, 4
	s_addk_i32 s50, 0x800
	s_waitcnt lgkmcnt(0)
	v_fmac_f32_e32 v21, v14, v1
	v_dual_fmac_f32 v30, v16, v5 :: v_dual_fmac_f32 v25, v17, v8
	v_fmac_f32_e32 v19, v15, v4
	v_add_nc_u32_e32 v11, s47, v11
	s_add_i32 s20, s20, 1
	s_add_i32 s49, s49, s33
	s_add_u32 s18, s18, 4
	s_addc_u32 s19, s19, 0
	s_cmpk_eq_i32 s50, 0x4000
	s_waitcnt_vscnt null, 0x0
	s_barrier
	buffer_gl0_inv
	s_cbranch_scc1 .LBB3_32
.LBB3_4:                                ; =>This Inner Loop Header: Depth=1
	s_and_saveexec_b32 s52, s1
	s_cbranch_execz .LBB3_9
; %bb.5:                                ;   in Loop: Header=BB3_4 Depth=1
	s_and_b32 vcc_lo, exec_lo, s28
	s_cbranch_vccz .LBB3_31
; %bb.6:                                ;   in Loop: Header=BB3_4 Depth=1
	s_ashr_i32 s21, s49, 31
	s_add_u32 s26, s15, s49
	s_addc_u32 s27, s29, s21
	s_delay_alu instid0(SALU_CYCLE_1) | instskip(NEXT) | instid1(SALU_CYCLE_1)
	s_lshl_b64 s[26:27], s[26:27], 2
	s_add_u32 s54, s44, s26
	s_addc_u32 s55, s45, s27
	s_add_u32 s26, s46, s26
	global_load_b32 v1, v18, s[54:55]
	s_addc_u32 s27, s48, s27
	s_cbranch_execnz .LBB3_8
.LBB3_7:                                ;   in Loop: Header=BB3_4 Depth=1
	s_ashr_i32 s21, s20, 31
	s_waitcnt vmcnt(0)
	v_mov_b32_e32 v1, 1.0
	s_lshl_b64 s[26:27], s[20:21], 2
	s_delay_alu instid0(SALU_CYCLE_1)
	s_add_u32 s26, s36, s26
	s_addc_u32 s27, s37, s27
.LBB3_8:                                ;   in Loop: Header=BB3_4 Depth=1
	global_load_b32 v2, v18, s[26:27]
	v_mov_b32_e32 v3, s51
	s_waitcnt vmcnt(0)
	ds_store_2addr_b32 v3, v1, v2 offset1:8
.LBB3_9:                                ;   in Loop: Header=BB3_4 Depth=1
	s_or_b32 exec_lo, exec_lo, s52
	v_ashrrev_i32_e32 v12, 31, v11
	v_mov_b32_e32 v37, s51
	s_delay_alu instid0(VALU_DEP_2) | instskip(SKIP_1) | instid1(VALU_DEP_1)
	v_lshlrev_b64 v[1:2], 2, v[11:12]
	v_add_nc_u32_e32 v12, s50, v28
	v_add_nc_u32_e32 v16, 0x4000, v12
	s_delay_alu instid0(VALU_DEP_3) | instskip(NEXT) | instid1(VALU_DEP_4)
	v_add_co_u32 v3, vcc_lo, s22, v1
	v_add_co_ci_u32_e32 v4, vcc_lo, s23, v2, vcc_lo
	v_add_co_u32 v5, vcc_lo, s24, v1
	v_add_co_ci_u32_e32 v6, vcc_lo, s25, v2, vcc_lo
	global_load_b128 v[1:4], v[3:4], off
	global_load_b128 v[5:8], v[5:6], off
	v_add_nc_u32_e32 v33, 0x4008, v12
	s_waitcnt vmcnt(1)
	ds_store_2addr_b32 v12, v1, v2 offset1:1
	ds_store_2addr_b32 v12, v3, v4 offset0:2 offset1:3
	s_waitcnt vmcnt(0)
	ds_store_2addr_b32 v16, v5, v6 offset1:1
	ds_store_2addr_b32 v33, v7, v8 offset1:1
	s_waitcnt lgkmcnt(0)
	s_barrier
	buffer_gl0_inv
	global_load_b32 v17, v18, s[18:19]
	ds_load_2addr_b32 v[1:2], v26 offset1:1
	ds_load_2addr_b32 v[3:4], v24 offset0:2 offset1:3
	ds_load_2addr_b32 v[5:6], v12 offset1:1
	ds_load_2addr_b32 v[7:8], v12 offset0:2 offset1:3
	ds_load_2addr_b32 v[12:13], v22 offset0:8 offset1:9
	;; [unrolled: 1-line block ×3, first 2 shown]
	s_waitcnt lgkmcnt(3)
	v_dual_mul_f32 v6, v2, v6 :: v_dual_mul_f32 v5, v1, v5
	s_waitcnt vmcnt(0)
	v_mul_f32_e32 v34, v1, v17
	v_mul_f32_e32 v35, v2, v17
	;; [unrolled: 1-line block ×3, first 2 shown]
	s_waitcnt lgkmcnt(1)
	v_dual_mul_f32 v3, v3, v7 :: v_dual_mul_f32 v2, v12, v5
	s_delay_alu instid0(VALU_DEP_3) | instskip(NEXT) | instid1(VALU_DEP_3)
	v_dual_mul_f32 v34, 0x3fb8aa3b, v34 :: v_dual_mul_f32 v35, 0x3fb8aa3b, v35
	v_dual_mul_f32 v17, v4, v17 :: v_dual_mul_f32 v38, 0x3fb8aa3b, v36
	s_delay_alu instid0(VALU_DEP_2) | instskip(NEXT) | instid1(VALU_DEP_2)
	v_exp_f32_e32 v1, v34
	v_exp_f32_e32 v36, v35
	s_delay_alu instid0(VALU_DEP_1) | instskip(NEXT) | instid1(VALU_DEP_2)
	v_mul_f32_e32 v5, 0x3fb8aa3b, v17
	v_exp_f32_e32 v38, v38
	v_dual_mul_f32 v17, v13, v6 :: v_dual_mul_f32 v6, v4, v8
	s_waitcnt lgkmcnt(0)
	v_mul_f32_e32 v34, v14, v3
	v_exp_f32_e32 v35, v5
	ds_load_2addr_b32 v[12:13], v37 offset1:8
	v_mul_f32_e32 v37, v15, v6
	v_mul_f32_e32 v3, v1, v36
	v_fma_f32 v4, v2, v36, v17
	s_delay_alu instid0(VALU_DEP_2) | instskip(NEXT) | instid1(VALU_DEP_2)
	v_mul_f32_e32 v5, v3, v38
	v_fma_f32 v6, v4, v38, v34
	s_delay_alu instid0(VALU_DEP_2) | instskip(NEXT) | instid1(VALU_DEP_2)
	;; [unrolled: 3-line block ×3, first 2 shown]
	v_mov_b32_dpp v41, v7 row_shr:1 row_mask:0xf bank_mask:0xf
	v_mov_b32_dpp v42, v8 row_shr:1 row_mask:0xf bank_mask:0xf
	v_dual_mov_b32 v39, v8 :: v_dual_mov_b32 v40, v7
	v_dual_mov_b32 v14, v7 :: v_dual_mov_b32 v15, v8
	s_and_saveexec_b32 s21, s6
; %bb.10:                               ;   in Loop: Header=BB3_4 Depth=1
	v_dual_mov_b32 v39, v8 :: v_dual_mul_f32 v40, v7, v41
	s_delay_alu instid0(VALU_DEP_1) | instskip(NEXT) | instid1(VALU_DEP_1)
	v_dual_fmac_f32 v39, v7, v42 :: v_dual_mov_b32 v14, v40
	v_mov_b32_e32 v15, v39
; %bb.11:                               ;   in Loop: Header=BB3_4 Depth=1
	s_or_b32 exec_lo, exec_lo, s21
	s_delay_alu instid0(VALU_DEP_2) | instskip(NEXT) | instid1(VALU_DEP_2)
	v_mov_b32_dpp v41, v14 row_shr:2 row_mask:0xf bank_mask:0xf
	v_mov_b32_dpp v42, v15 row_shr:2 row_mask:0xf bank_mask:0xf
	s_and_saveexec_b32 s21, s7
; %bb.12:                               ;   in Loop: Header=BB3_4 Depth=1
	s_delay_alu instid0(VALU_DEP_2) | instskip(NEXT) | instid1(VALU_DEP_1)
	v_mul_f32_e32 v14, v40, v41
	v_dual_fmac_f32 v39, v40, v42 :: v_dual_mov_b32 v40, v14
	s_delay_alu instid0(VALU_DEP_1)
	v_mov_b32_e32 v15, v39
; %bb.13:                               ;   in Loop: Header=BB3_4 Depth=1
	s_or_b32 exec_lo, exec_lo, s21
	v_mov_b32_dpp v41, v14 row_shr:4 row_mask:0xf bank_mask:0xf
	s_delay_alu instid0(VALU_DEP_2)
	v_mov_b32_dpp v42, v15 row_shr:4 row_mask:0xf bank_mask:0xf
	s_and_saveexec_b32 s21, s8
; %bb.14:                               ;   in Loop: Header=BB3_4 Depth=1
	s_delay_alu instid0(VALU_DEP_2) | instskip(NEXT) | instid1(VALU_DEP_1)
	v_mul_f32_e32 v14, v40, v41
	v_dual_fmac_f32 v39, v40, v42 :: v_dual_mov_b32 v40, v14
	s_delay_alu instid0(VALU_DEP_1)
	v_mov_b32_e32 v15, v39
; %bb.15:                               ;   in Loop: Header=BB3_4 Depth=1
	s_or_b32 exec_lo, exec_lo, s21
	v_mov_b32_dpp v41, v14 row_shr:8 row_mask:0xf bank_mask:0xf
	s_delay_alu instid0(VALU_DEP_2)
	v_mov_b32_dpp v42, v15 row_shr:8 row_mask:0xf bank_mask:0xf
	s_and_saveexec_b32 s21, s9
; %bb.16:                               ;   in Loop: Header=BB3_4 Depth=1
	s_delay_alu instid0(VALU_DEP_2) | instskip(NEXT) | instid1(VALU_DEP_1)
	v_mul_f32_e32 v14, v40, v41
	v_dual_fmac_f32 v39, v40, v42 :: v_dual_mov_b32 v40, v14
	s_delay_alu instid0(VALU_DEP_1)
	v_mov_b32_e32 v15, v39
; %bb.17:                               ;   in Loop: Header=BB3_4 Depth=1
	s_or_b32 exec_lo, exec_lo, s21
	ds_swizzle_b32 v41, v14 offset:swizzle(BROADCAST,32,15)
	ds_swizzle_b32 v42, v15 offset:swizzle(BROADCAST,32,15)
	s_and_saveexec_b32 s21, s10
	s_cbranch_execz .LBB3_19
; %bb.18:                               ;   in Loop: Header=BB3_4 Depth=1
	s_waitcnt lgkmcnt(0)
	v_fmac_f32_e32 v39, v40, v42
	s_delay_alu instid0(VALU_DEP_1) | instskip(NEXT) | instid1(VALU_DEP_1)
	v_dual_mul_f32 v40, v40, v41 :: v_dual_mov_b32 v15, v39
	v_mov_b32_e32 v14, v40
.LBB3_19:                               ;   in Loop: Header=BB3_4 Depth=1
	s_or_b32 exec_lo, exec_lo, s21
	s_and_saveexec_b32 s21, s4
	s_cbranch_execz .LBB3_21
; %bb.20:                               ;   in Loop: Header=BB3_4 Depth=1
	ds_store_2addr_b32 v27, v14, v15 offset1:1
.LBB3_21:                               ;   in Loop: Header=BB3_4 Depth=1
	s_or_b32 exec_lo, exec_lo, s21
	s_waitcnt lgkmcnt(0)
	s_barrier
	buffer_gl0_inv
	s_and_saveexec_b32 s21, s2
	s_cbranch_execz .LBB3_25
; %bb.22:                               ;   in Loop: Header=BB3_4 Depth=1
	ds_load_2addr_b32 v[14:15], v20 offset1:1
	s_waitcnt lgkmcnt(0)
	v_mov_b32_dpp v41, v14 row_shr:1 row_mask:0xf bank_mask:0xf
	v_mov_b32_dpp v42, v15 row_shr:1 row_mask:0xf bank_mask:0xf
	s_and_saveexec_b32 s26, s11
; %bb.23:                               ;   in Loop: Header=BB3_4 Depth=1
	s_delay_alu instid0(VALU_DEP_1) | instskip(NEXT) | instid1(VALU_DEP_3)
	v_fma_f32 v15, v14, v42, v15
	v_mul_f32_e32 v14, v14, v41
; %bb.24:                               ;   in Loop: Header=BB3_4 Depth=1
	s_or_b32 exec_lo, exec_lo, s26
	s_delay_alu instid0(VALU_DEP_1) | instskip(NEXT) | instid1(VALU_DEP_3)
	v_mov_b32_dpp v41, v14 row_shr:2 row_mask:0xf bank_mask:0xf
	v_mov_b32_dpp v42, v15 row_shr:2 row_mask:0xf bank_mask:0xf
	s_delay_alu instid0(VALU_DEP_2) | instskip(NEXT) | instid1(VALU_DEP_2)
	v_mul_f32_e32 v41, v14, v41
	v_fma_f32 v42, v14, v42, v15
	s_delay_alu instid0(VALU_DEP_2) | instskip(NEXT) | instid1(VALU_DEP_2)
	v_cndmask_b32_e64 v14, v14, v41, s12
	v_cndmask_b32_e64 v15, v15, v42, s12
	ds_store_2addr_b32 v20, v14, v15 offset1:1
.LBB3_25:                               ;   in Loop: Header=BB3_4 Depth=1
	s_or_b32 exec_lo, exec_lo, s21
	s_waitcnt lgkmcnt(0)
	s_barrier
	buffer_gl0_inv
                                        ; implicit-def: $vgpr15
	s_and_saveexec_b32 s21, s3
	s_cbranch_execz .LBB3_27
; %bb.26:                               ;   in Loop: Header=BB3_4 Depth=1
	ds_load_2addr_b32 v[14:15], v31 offset1:1
	s_waitcnt lgkmcnt(0)
	v_mul_f32_e32 v41, v40, v14
	s_delay_alu instid0(VALU_DEP_1)
	v_dual_fmac_f32 v39, v40, v15 :: v_dual_mov_b32 v40, v41
.LBB3_27:                               ;   in Loop: Header=BB3_4 Depth=1
	s_or_b32 exec_lo, exec_lo, s21
	ds_bpermute_b32 v40, v29, v40
	ds_bpermute_b32 v39, v29, v39
	s_and_saveexec_b32 s21, s0
	s_cbranch_execz .LBB3_29
; %bb.28:                               ;   in Loop: Header=BB3_4 Depth=1
	s_waitcnt lgkmcnt(0)
	v_cndmask_b32_e64 v3, v39, v15, s5
	v_cndmask_b32_e64 v4, v40, v14, s5
	;;#ASMSTART
	;;#ASMEND
	s_delay_alu instid0(VALU_DEP_2) | instskip(NEXT) | instid1(VALU_DEP_2)
	v_fmac_f32_e32 v2, v1, v3
	v_mul_f32_e32 v1, v1, v4
	s_delay_alu instid0(VALU_DEP_1) | instskip(NEXT) | instid1(VALU_DEP_1)
	v_mul_f32_e32 v3, v1, v36
	v_mul_f32_e32 v5, v3, v38
	s_delay_alu instid0(VALU_DEP_4) | instskip(NEXT) | instid1(VALU_DEP_2)
	v_fmac_f32_e32 v17, v2, v36
	v_mul_f32_e32 v7, v5, v35
	s_delay_alu instid0(VALU_DEP_2) | instskip(NEXT) | instid1(VALU_DEP_1)
	v_fmac_f32_e32 v34, v17, v38
	v_fmac_f32_e32 v37, v34, v35
	v_mov_b32_e32 v6, v34
	s_delay_alu instid0(VALU_DEP_2)
	v_mov_b32_e32 v8, v37
	v_mov_b32_e32 v4, v17
.LBB3_29:                               ;   in Loop: Header=BB3_4 Depth=1
	s_or_b32 exec_lo, exec_lo, s21
	s_clause 0x1
	scratch_store_b128 off, v[1:4], off
	scratch_store_b128 off, v[5:8], off offset:16
	s_waitcnt lgkmcnt(0)
	s_waitcnt_vscnt null, 0x0
	s_barrier
	buffer_gl0_inv
	s_clause 0x1
	scratch_load_b128 v[5:8], off, off
	scratch_load_b128 v[1:4], off, off offset:16
	ds_load_2addr_b32 v[16:17], v16 offset1:1
	ds_load_2addr_b32 v[14:15], v33 offset1:1
	s_and_saveexec_b32 s21, s13
	s_cbranch_execz .LBB3_3
; %bb.30:                               ;   in Loop: Header=BB3_4 Depth=1
	scratch_load_b64 v[33:34], v32, off
	s_add_i32 s26, s15, s49
	v_mov_b32_e32 v35, s51
	s_ashr_i32 s27, s26, 31
	s_delay_alu instid0(SALU_CYCLE_1) | instskip(NEXT) | instid1(SALU_CYCLE_1)
	s_lshl_b64 s[26:27], s[26:27], 2
	s_add_u32 s52, s40, s26
	s_addc_u32 s53, s41, s27
	s_add_u32 s26, s42, s26
	s_addc_u32 s27, s43, s27
	s_waitcnt vmcnt(0)
	v_mul_f32_e32 v12, v12, v33
	v_fmac_f32_e32 v34, v13, v33
	s_clause 0x1
	global_store_b32 v18, v12, s[52:53]
	global_store_b32 v18, v34, s[26:27]
	ds_store_2addr_b32 v35, v12, v34 offset1:8
	s_branch .LBB3_3
.LBB3_31:                               ;   in Loop: Header=BB3_4 Depth=1
                                        ; implicit-def: $sgpr26_sgpr27
                                        ; implicit-def: $vgpr1
	s_branch .LBB3_7
.LBB3_32:
	s_add_u32 s0, s30, s34
	s_addc_u32 s1, s31, s35
	s_add_u32 s0, s0, s16
	s_addc_u32 s1, s1, s17
	v_add_co_u32 v1, vcc_lo, s0, v9
	v_add_co_ci_u32_e32 v2, vcc_lo, s1, v10, vcc_lo
	s_add_u32 s0, s38, s34
	s_addc_u32 s1, s39, s35
	s_add_u32 s0, s0, s16
	global_load_b32 v3, v[1:2], off
	s_addc_u32 s1, s1, s17
	s_add_i32 s33, s33, -1
	s_delay_alu instid0(SALU_CYCLE_1) | instskip(SKIP_2) | instid1(VALU_DEP_1)
	s_cmp_eq_u32 s15, s33
	s_waitcnt vmcnt(0)
	v_mul_f32_e32 v4, 0xbfb8aa3b, v3
	v_exp_f32_e32 v4, v4
	s_waitcnt_depctr 0xfff
	v_add_f32_e32 v4, 1.0, v4
	s_delay_alu instid0(VALU_DEP_1) | instskip(SKIP_1) | instid1(VALU_DEP_2)
	v_div_scale_f32 v5, null, v4, v4, v3
	v_div_scale_f32 v8, vcc_lo, v3, v4, v3
	v_rcp_f32_e32 v6, v5
	s_waitcnt_depctr 0xfff
	v_fma_f32 v7, -v5, v6, 1.0
	s_delay_alu instid0(VALU_DEP_1) | instskip(NEXT) | instid1(VALU_DEP_1)
	v_fmac_f32_e32 v6, v7, v6
	v_mul_f32_e32 v7, v8, v6
	s_delay_alu instid0(VALU_DEP_1) | instskip(NEXT) | instid1(VALU_DEP_1)
	v_fma_f32 v11, -v5, v7, v8
	v_fmac_f32_e32 v7, v11, v6
	s_delay_alu instid0(VALU_DEP_1) | instskip(NEXT) | instid1(VALU_DEP_1)
	v_fma_f32 v5, -v5, v7, v8
	v_div_fmas_f32 v5, v5, v6, v7
	s_delay_alu instid0(VALU_DEP_1) | instskip(SKIP_2) | instid1(VALU_DEP_3)
	v_div_fixup_f32 v5, v5, v4, v3
	v_add_co_u32 v3, vcc_lo, s0, v9
	v_add_co_ci_u32_e32 v4, vcc_lo, s1, v10, vcc_lo
	v_mul_f32_e32 v5, v30, v5
	s_cselect_b32 s0, -1, 0
	global_store_b32 v[3:4], v5, off
	global_load_b32 v5, v[1:2], off offset:4
	s_waitcnt vmcnt(0)
	v_mul_f32_e32 v6, 0xbfb8aa3b, v5
	s_delay_alu instid0(VALU_DEP_1) | instskip(SKIP_2) | instid1(VALU_DEP_1)
	v_exp_f32_e32 v6, v6
	s_waitcnt_depctr 0xfff
	v_add_f32_e32 v6, 1.0, v6
	v_div_scale_f32 v7, null, v6, v6, v5
	v_div_scale_f32 v10, vcc_lo, v5, v6, v5
	s_delay_alu instid0(VALU_DEP_2) | instskip(SKIP_2) | instid1(VALU_DEP_1)
	v_rcp_f32_e32 v8, v7
	s_waitcnt_depctr 0xfff
	v_fma_f32 v9, -v7, v8, 1.0
	v_fmac_f32_e32 v8, v9, v8
	s_delay_alu instid0(VALU_DEP_1) | instskip(NEXT) | instid1(VALU_DEP_1)
	v_mul_f32_e32 v9, v10, v8
	v_fma_f32 v11, -v7, v9, v10
	s_delay_alu instid0(VALU_DEP_1) | instskip(NEXT) | instid1(VALU_DEP_1)
	v_fmac_f32_e32 v9, v11, v8
	v_fma_f32 v7, -v7, v9, v10
	s_delay_alu instid0(VALU_DEP_1) | instskip(NEXT) | instid1(VALU_DEP_1)
	v_div_fmas_f32 v7, v7, v8, v9
	v_div_fixup_f32 v5, v7, v6, v5
	s_delay_alu instid0(VALU_DEP_1) | instskip(SKIP_4) | instid1(VALU_DEP_1)
	v_mul_f32_e32 v5, v25, v5
	global_store_b32 v[3:4], v5, off offset:4
	global_load_b32 v5, v[1:2], off offset:8
	s_waitcnt vmcnt(0)
	v_mul_f32_e32 v6, 0xbfb8aa3b, v5
	v_exp_f32_e32 v6, v6
	s_waitcnt_depctr 0xfff
	v_add_f32_e32 v6, 1.0, v6
	s_delay_alu instid0(VALU_DEP_1) | instskip(SKIP_1) | instid1(VALU_DEP_2)
	v_div_scale_f32 v7, null, v6, v6, v5
	v_div_scale_f32 v10, vcc_lo, v5, v6, v5
	v_rcp_f32_e32 v8, v7
	s_waitcnt_depctr 0xfff
	v_fma_f32 v9, -v7, v8, 1.0
	s_delay_alu instid0(VALU_DEP_1) | instskip(NEXT) | instid1(VALU_DEP_1)
	v_fmac_f32_e32 v8, v9, v8
	v_mul_f32_e32 v9, v10, v8
	s_delay_alu instid0(VALU_DEP_1) | instskip(NEXT) | instid1(VALU_DEP_1)
	v_fma_f32 v11, -v7, v9, v10
	v_fmac_f32_e32 v9, v11, v8
	s_delay_alu instid0(VALU_DEP_1) | instskip(NEXT) | instid1(VALU_DEP_1)
	v_fma_f32 v7, -v7, v9, v10
	v_div_fmas_f32 v7, v7, v8, v9
	s_delay_alu instid0(VALU_DEP_1) | instskip(NEXT) | instid1(VALU_DEP_1)
	v_div_fixup_f32 v5, v7, v6, v5
	v_mul_f32_e32 v5, v21, v5
	global_store_b32 v[3:4], v5, off offset:8
	global_load_b32 v1, v[1:2], off offset:12
	s_waitcnt vmcnt(0)
	v_mul_f32_e32 v2, 0xbfb8aa3b, v1
	s_delay_alu instid0(VALU_DEP_1) | instskip(SKIP_2) | instid1(VALU_DEP_1)
	v_exp_f32_e32 v2, v2
	s_waitcnt_depctr 0xfff
	v_add_f32_e32 v2, 1.0, v2
	v_div_scale_f32 v5, null, v2, v2, v1
	v_div_scale_f32 v8, vcc_lo, v1, v2, v1
	s_delay_alu instid0(VALU_DEP_2) | instskip(SKIP_2) | instid1(VALU_DEP_1)
	v_rcp_f32_e32 v6, v5
	s_waitcnt_depctr 0xfff
	v_fma_f32 v7, -v5, v6, 1.0
	v_fmac_f32_e32 v6, v7, v6
	s_delay_alu instid0(VALU_DEP_1) | instskip(NEXT) | instid1(VALU_DEP_1)
	v_mul_f32_e32 v7, v8, v6
	v_fma_f32 v9, -v5, v7, v8
	s_delay_alu instid0(VALU_DEP_1) | instskip(NEXT) | instid1(VALU_DEP_1)
	v_fmac_f32_e32 v7, v9, v6
	v_fma_f32 v5, -v5, v7, v8
	s_delay_alu instid0(VALU_DEP_1) | instskip(SKIP_1) | instid1(VALU_DEP_2)
	v_div_fmas_f32 v5, v5, v6, v7
	v_cmp_gt_u32_e32 vcc_lo, 8, v0
	v_div_fixup_f32 v1, v5, v2, v1
	s_and_b32 s0, vcc_lo, s0
	s_delay_alu instid0(VALU_DEP_1)
	v_mul_f32_e32 v1, v19, v1
	global_store_b32 v[3:4], v1, off offset:12
	s_and_saveexec_b32 s1, s0
	s_cbranch_execz .LBB3_34
; %bb.33:
	v_lshl_add_u32 v1, v0, 2, 0
	v_add_nc_u32_e32 v0, s14, v0
	ds_load_b32 v2, v1 offset:36928
	v_ashrrev_i32_e32 v1, 31, v0
	s_delay_alu instid0(VALU_DEP_1) | instskip(NEXT) | instid1(VALU_DEP_1)
	v_lshlrev_b64 v[0:1], 2, v[0:1]
	v_add_co_u32 v0, vcc_lo, s36, v0
	s_delay_alu instid0(VALU_DEP_2)
	v_add_co_ci_u32_e32 v1, vcc_lo, s37, v1, vcc_lo
	s_waitcnt lgkmcnt(0)
	global_store_b32 v[0:1], v2, off
.LBB3_34:
	s_nop 0
	s_sendmsg sendmsg(MSG_DEALLOC_VGPRS)
	s_endpgm
	.section	.rodata,"a",@progbits
	.p2align	6, 0x0
	.amdhsa_kernel _Z26selective_scan_vllm_kernelI18SSMFwdKernelTraitsILi128ELi4ELi8ELb1ELb0ELb1EEEv13SSMParamsBase
		.amdhsa_group_segment_fixed_size 0
		.amdhsa_private_segment_fixed_size 48
		.amdhsa_kernarg_size 144
		.amdhsa_user_sgpr_count 14
		.amdhsa_user_sgpr_dispatch_ptr 0
		.amdhsa_user_sgpr_queue_ptr 0
		.amdhsa_user_sgpr_kernarg_segment_ptr 1
		.amdhsa_user_sgpr_dispatch_id 0
		.amdhsa_user_sgpr_private_segment_size 0
		.amdhsa_wavefront_size32 1
		.amdhsa_uses_dynamic_stack 0
		.amdhsa_enable_private_segment 1
		.amdhsa_system_sgpr_workgroup_id_x 1
		.amdhsa_system_sgpr_workgroup_id_y 1
		.amdhsa_system_sgpr_workgroup_id_z 0
		.amdhsa_system_sgpr_workgroup_info 0
		.amdhsa_system_vgpr_workitem_id 0
		.amdhsa_next_free_vgpr 43
		.amdhsa_next_free_sgpr 56
		.amdhsa_reserve_vcc 1
		.amdhsa_float_round_mode_32 0
		.amdhsa_float_round_mode_16_64 0
		.amdhsa_float_denorm_mode_32 3
		.amdhsa_float_denorm_mode_16_64 3
		.amdhsa_dx10_clamp 1
		.amdhsa_ieee_mode 1
		.amdhsa_fp16_overflow 0
		.amdhsa_workgroup_processor_mode 1
		.amdhsa_memory_ordered 1
		.amdhsa_forward_progress 0
		.amdhsa_shared_vgpr_count 0
		.amdhsa_exception_fp_ieee_invalid_op 0
		.amdhsa_exception_fp_denorm_src 0
		.amdhsa_exception_fp_ieee_div_zero 0
		.amdhsa_exception_fp_ieee_overflow 0
		.amdhsa_exception_fp_ieee_underflow 0
		.amdhsa_exception_fp_ieee_inexact 0
		.amdhsa_exception_int_div_zero 0
	.end_amdhsa_kernel
	.section	.text._Z26selective_scan_vllm_kernelI18SSMFwdKernelTraitsILi128ELi4ELi8ELb1ELb0ELb1EEEv13SSMParamsBase,"axG",@progbits,_Z26selective_scan_vllm_kernelI18SSMFwdKernelTraitsILi128ELi4ELi8ELb1ELb0ELb1EEEv13SSMParamsBase,comdat
.Lfunc_end3:
	.size	_Z26selective_scan_vllm_kernelI18SSMFwdKernelTraitsILi128ELi4ELi8ELb1ELb0ELb1EEEv13SSMParamsBase, .Lfunc_end3-_Z26selective_scan_vllm_kernelI18SSMFwdKernelTraitsILi128ELi4ELi8ELb1ELb0ELb1EEEv13SSMParamsBase
                                        ; -- End function
	.section	.AMDGPU.csdata,"",@progbits
; Kernel info:
; codeLenInByte = 2976
; NumSgprs: 58
; NumVgprs: 43
; ScratchSize: 48
; MemoryBound: 0
; FloatMode: 240
; IeeeMode: 1
; LDSByteSize: 0 bytes/workgroup (compile time only)
; SGPRBlocks: 7
; VGPRBlocks: 5
; NumSGPRsForWavesPerEU: 58
; NumVGPRsForWavesPerEU: 43
; Occupancy: 16
; WaveLimiterHint : 0
; COMPUTE_PGM_RSRC2:SCRATCH_EN: 1
; COMPUTE_PGM_RSRC2:USER_SGPR: 14
; COMPUTE_PGM_RSRC2:TRAP_HANDLER: 0
; COMPUTE_PGM_RSRC2:TGID_X_EN: 1
; COMPUTE_PGM_RSRC2:TGID_Y_EN: 1
; COMPUTE_PGM_RSRC2:TGID_Z_EN: 0
; COMPUTE_PGM_RSRC2:TIDIG_COMP_CNT: 0
	.section	.text._Z26selective_scan_vllm_kernelI18SSMFwdKernelTraitsILi128ELi4ELi8ELb1ELb0ELb0EEEv13SSMParamsBase,"axG",@progbits,_Z26selective_scan_vllm_kernelI18SSMFwdKernelTraitsILi128ELi4ELi8ELb1ELb0ELb0EEEv13SSMParamsBase,comdat
	.protected	_Z26selective_scan_vllm_kernelI18SSMFwdKernelTraitsILi128ELi4ELi8ELb1ELb0ELb0EEEv13SSMParamsBase ; -- Begin function _Z26selective_scan_vllm_kernelI18SSMFwdKernelTraitsILi128ELi4ELi8ELb1ELb0ELb0EEEv13SSMParamsBase
	.globl	_Z26selective_scan_vllm_kernelI18SSMFwdKernelTraitsILi128ELi4ELi8ELb1ELb0ELb0EEEv13SSMParamsBase
	.p2align	8
	.type	_Z26selective_scan_vllm_kernelI18SSMFwdKernelTraitsILi128ELi4ELi8ELb1ELb0ELb0EEEv13SSMParamsBase,@function
_Z26selective_scan_vllm_kernelI18SSMFwdKernelTraitsILi128ELi4ELi8ELb1ELb0ELb0EEEv13SSMParamsBase: ; @_Z26selective_scan_vllm_kernelI18SSMFwdKernelTraitsILi128ELi4ELi8ELb1ELb0ELb0EEEv13SSMParamsBase
; %bb.0:
	s_clause 0x3
	s_load_b64 s[6:7], s[0:1], 0x4
	s_load_b512 s[16:31], s[0:1], 0x18
	s_load_b64 s[48:49], s[0:1], 0x88
	s_load_b128 s[44:47], s[0:1], 0x78
	s_abs_i32 s10, s14
	s_ashr_i32 s9, s14, 31
	s_waitcnt lgkmcnt(0)
	s_abs_i32 s4, s6
	s_ashr_i32 s11, s6, 31
	v_cvt_f32_u32_e32 v1, s4
	s_sub_i32 s2, 0, s4
	s_delay_alu instid0(VALU_DEP_1) | instskip(SKIP_2) | instid1(VALU_DEP_1)
	v_rcp_iflag_f32_e32 v1, v1
	s_waitcnt_depctr 0xfff
	v_mul_f32_e32 v1, 0x4f7ffffe, v1
	v_cvt_u32_f32_e32 v1, v1
	s_delay_alu instid0(VALU_DEP_1) | instskip(NEXT) | instid1(VALU_DEP_1)
	v_readfirstlane_b32 s5, v1
	s_mul_i32 s3, s2, s5
	v_cmp_ne_u32_e64 s2, 0, v0
	s_mul_hi_u32 s8, s5, s3
	v_cmp_eq_u32_e64 s3, 0, v0
	s_add_i32 s5, s5, s8
	s_delay_alu instid0(SALU_CYCLE_1) | instskip(SKIP_1) | instid1(VALU_DEP_1)
	s_mul_hi_u32 s8, s10, s5
	s_lshl_b32 s5, s15, 9
	s_and_saveexec_b32 s12, s3
	s_cbranch_execz .LBB4_2
; %bb.1:
	s_add_i32 s13, s5, 0x200
	s_not_b32 s33, s5
	s_min_i32 s13, s13, s7
	v_mov_b32_e32 v3, 0
	s_add_i32 s13, s13, s33
	s_delay_alu instid0(SALU_CYCLE_1) | instskip(NEXT) | instid1(SALU_CYCLE_1)
	s_ashr_i32 s33, s13, 31
	s_lshr_b32 s33, s33, 30
	s_delay_alu instid0(SALU_CYCLE_1) | instskip(NEXT) | instid1(SALU_CYCLE_1)
	s_add_i32 s33, s13, s33
	s_and_b32 s34, s33, -4
	s_ashr_i32 s33, s33, 2
	s_sub_i32 s13, s13, s34
	s_delay_alu instid0(SALU_CYCLE_1)
	v_dual_mov_b32 v1, s33 :: v_dual_mov_b32 v2, s13
	ds_store_b64 v3, v[1:2] offset:36960
.LBB4_2:
	s_or_b32 exec_lo, exec_lo, s12
	s_mul_i32 s12, s8, s4
	s_xor_b32 s9, s9, s11
	s_sub_i32 s10, s10, s12
	s_add_i32 s11, s8, 1
	s_sub_i32 s12, s10, s4
	s_cmp_ge_u32 s10, s4
	v_dual_mov_b32 v4, 0 :: v_dual_lshlrev_b32 v3, 2, v0
	s_cselect_b32 s8, s11, s8
	s_cselect_b32 s10, s12, s10
	s_add_i32 s11, s8, 1
	s_cmp_ge_u32 s10, s4
	s_waitcnt lgkmcnt(0)
	s_cselect_b32 s4, s11, s8
	s_barrier
	s_xor_b32 s4, s4, s9
	buffer_gl0_inv
	s_sub_i32 s53, s4, s9
	ds_load_b64 v[1:2], v4 offset:36960
	s_mul_i32 s8, s53, s44
	s_mul_i32 s4, s53, s6
	s_ashr_i32 s9, s8, 31
	s_sub_i32 s50, s14, s4
	s_lshl_b64 s[34:35], s[8:9], 2
	s_mul_i32 s8, s50, s45
	s_add_u32 s4, s16, s34
	s_addc_u32 s6, s17, s35
	s_ashr_i32 s9, s8, 31
	v_add_nc_u32_e32 v9, s5, v3
	s_lshl_b64 s[44:45], s[8:9], 2
	v_mov_b32_e32 v5, 0
	s_add_u32 s16, s4, s44
	s_addc_u32 s17, s6, s45
	s_ashr_i32 s51, s50, 31
	v_cmp_gt_i32_e64 s4, s7, v9
	s_lshl_b64 s[10:11], s[50:51], 2
	v_ashrrev_i32_e32 v10, 31, v9
	s_add_u32 s8, s28, s10
	s_addc_u32 s9, s29, s11
	s_and_saveexec_b32 s5, s4
	s_cbranch_execz .LBB4_4
; %bb.3:
	v_lshlrev_b64 v[5:6], 2, v[9:10]
	s_delay_alu instid0(VALU_DEP_1) | instskip(NEXT) | instid1(VALU_DEP_2)
	v_add_co_u32 v5, vcc_lo, s16, v5
	v_add_co_ci_u32_e32 v6, vcc_lo, s17, v6, vcc_lo
	global_load_b32 v5, v[5:6], off
.LBB4_4:
	s_or_b32 exec_lo, exec_lo, s5
	s_load_b32 s9, s[8:9], 0x0
	s_add_u32 s5, s18, s34
	s_addc_u32 s6, s19, s35
	s_add_u32 s12, s5, s44
	s_addc_u32 s13, s6, s45
	s_and_saveexec_b32 s5, s4
	s_cbranch_execz .LBB4_6
; %bb.5:
	v_lshlrev_b64 v[6:7], 2, v[9:10]
	s_delay_alu instid0(VALU_DEP_1) | instskip(NEXT) | instid1(VALU_DEP_2)
	v_add_co_u32 v6, vcc_lo, s12, v6
	v_add_co_ci_u32_e32 v7, vcc_lo, s13, v7, vcc_lo
	global_load_b32 v4, v[6:7], off
.LBB4_6:
	s_or_b32 exec_lo, exec_lo, s5
	v_lshl_add_u32 v17, v3, 2, 0
	v_or_b32_e32 v6, 1, v9
	s_waitcnt vmcnt(0) lgkmcnt(0)
	v_dual_add_f32 v7, s9, v4 :: v_dual_mov_b32 v4, 0
	s_delay_alu instid0(VALU_DEP_3) | instskip(NEXT) | instid1(VALU_DEP_3)
	v_add_nc_u32_e32 v8, 32, v17
	v_cmp_gt_i32_e64 s5, s7, v6
	v_mov_b32_e32 v6, 0
	ds_store_2addr_stride64_b32 v8, v5, v7 offset1:8
	s_and_saveexec_b32 s6, s5
	s_cbranch_execz .LBB4_8
; %bb.7:
	v_lshlrev_b64 v[4:5], 2, v[9:10]
	s_delay_alu instid0(VALU_DEP_1) | instskip(NEXT) | instid1(VALU_DEP_2)
	v_add_co_u32 v4, vcc_lo, s16, v4
	v_add_co_ci_u32_e32 v5, vcc_lo, s17, v5, vcc_lo
	global_load_b32 v4, v[4:5], off offset:4
.LBB4_8:
	s_or_b32 exec_lo, exec_lo, s6
	s_and_saveexec_b32 s6, s5
	s_cbranch_execz .LBB4_10
; %bb.9:
	v_lshlrev_b64 v[5:6], 2, v[9:10]
	s_delay_alu instid0(VALU_DEP_1) | instskip(NEXT) | instid1(VALU_DEP_2)
	v_add_co_u32 v5, vcc_lo, s12, v5
	v_add_co_ci_u32_e32 v6, vcc_lo, s13, v6, vcc_lo
	global_load_b32 v6, v[5:6], off offset:4
.LBB4_10:
	s_or_b32 exec_lo, exec_lo, s6
	s_waitcnt vmcnt(0)
	v_dual_add_f32 v6, s9, v6 :: v_dual_lshlrev_b32 v7, 2, v3
	v_or_b32_e32 v8, 2, v9
	v_mov_b32_e32 v3, 0
	v_mov_b32_e32 v5, 0
	s_delay_alu instid0(VALU_DEP_4)
	v_add3_u32 v18, 0, 32, v7
	v_add3_u32 v19, 0, 0x820, v7
	v_cmp_gt_i32_e64 s6, s7, v8
	ds_store_b32 v18, v4 offset:4
	ds_store_b32 v19, v6 offset:4
	s_and_saveexec_b32 s8, s6
	s_cbranch_execz .LBB4_12
; %bb.11:
	v_lshlrev_b64 v[4:5], 2, v[9:10]
	s_delay_alu instid0(VALU_DEP_1) | instskip(NEXT) | instid1(VALU_DEP_2)
	v_add_co_u32 v4, vcc_lo, s16, v4
	v_add_co_ci_u32_e32 v5, vcc_lo, s17, v5, vcc_lo
	global_load_b32 v5, v[4:5], off offset:8
.LBB4_12:
	s_or_b32 exec_lo, exec_lo, s8
	s_and_saveexec_b32 s8, s6
	s_cbranch_execz .LBB4_14
; %bb.13:
	v_lshlrev_b64 v[3:4], 2, v[9:10]
	s_delay_alu instid0(VALU_DEP_1) | instskip(NEXT) | instid1(VALU_DEP_2)
	v_add_co_u32 v3, vcc_lo, s12, v3
	v_add_co_ci_u32_e32 v4, vcc_lo, s13, v4, vcc_lo
	global_load_b32 v3, v[3:4], off offset:8
.LBB4_14:
	s_or_b32 exec_lo, exec_lo, s8
	v_or_b32_e32 v4, 3, v9
	s_waitcnt vmcnt(0)
	v_dual_add_f32 v6, s9, v3 :: v_dual_mov_b32 v3, 0
	ds_store_b32 v18, v5 offset:8
	ds_store_b32 v19, v6 offset:8
	v_cmp_le_i32_e32 vcc_lo, s7, v4
	v_cmp_gt_i32_e64 s7, s7, v4
	s_delay_alu instid0(VALU_DEP_1)
	s_and_saveexec_b32 s18, s7
	s_cbranch_execz .LBB4_16
; %bb.15:
	v_lshlrev_b64 v[3:4], 2, v[9:10]
	s_delay_alu instid0(VALU_DEP_1) | instskip(NEXT) | instid1(VALU_DEP_1)
	v_add_co_u32 v3, s8, s16, v3
	v_add_co_ci_u32_e64 v4, s8, s17, v4, s8
	global_load_b32 v3, v[3:4], off offset:12
.LBB4_16:
	s_or_b32 exec_lo, exec_lo, s18
                                        ; implicit-def: $sgpr16
	s_and_saveexec_b32 s8, vcc_lo
	s_delay_alu instid0(SALU_CYCLE_1)
	s_xor_b32 s8, exec_lo, s8
; %bb.17:
	s_mov_b32 s16, 0
; %bb.18:
	s_or_saveexec_b32 s8, s8
	s_clause 0x1
	s_load_b32 s33, s[0:1], 0x10
	s_load_b256 s[36:43], s[0:1], 0x58
	v_mov_b32_e32 v4, s16
	s_xor_b32 exec_lo, exec_lo, s8
	s_cbranch_execz .LBB4_20
; %bb.19:
	v_lshlrev_b64 v[4:5], 2, v[9:10]
	s_delay_alu instid0(VALU_DEP_1) | instskip(NEXT) | instid1(VALU_DEP_2)
	v_add_co_u32 v4, vcc_lo, s12, v4
	v_add_co_ci_u32_e32 v5, vcc_lo, s13, v5, vcc_lo
	global_load_b32 v4, v[4:5], off offset:12
.LBB4_20:
	s_or_b32 exec_lo, exec_lo, s8
	v_mbcnt_lo_u32_b32 v7, -1, 0
	s_waitcnt vmcnt(0)
	v_add_f32_e32 v4, s9, v4
	s_add_u32 s0, s26, s10
	s_addc_u32 s1, s27, s11
	s_lshl_b32 s26, s50, 3
	v_add_nc_u32_e32 v13, -1, v7
	ds_store_b32 v18, v3 offset:12
	ds_store_b32 v19, v4 offset:12
	s_waitcnt lgkmcnt(0)
	s_barrier
	buffer_gl0_inv
	s_load_b32 s9, s[0:1], 0x0
	ds_load_2addr_b32 v[3:4], v17 offset0:8 offset1:9
	ds_load_2addr_b32 v[5:6], v18 offset0:2 offset1:3
	s_mul_i32 s51, s53, s46
	v_cmp_gt_i32_e32 vcc_lo, 0, v13
	s_cmp_lg_u32 s15, 0
	s_mul_i32 s53, s53, s48
	s_mul_i32 s46, s50, s49
	s_cselect_b32 s48, -1, 0
	s_add_i32 s46, s46, s53
	s_ashr_i32 s49, s15, 31
	s_add_u32 s50, s40, -4
	s_addc_u32 s53, s41, -1
	s_add_u32 s54, s42, -4
	s_addc_u32 s55, s43, -1
	s_add_u32 s56, s22, 4
	s_addc_u32 s57, s23, 0
	s_add_u32 s58, s24, 4
	s_addc_u32 s59, s25, 0
	;; [unrolled: 2-line block ×3, first 2 shown]
	s_waitcnt lgkmcnt(0)
	v_dual_mul_f32 v23, s9, v3 :: v_dual_mul_f32 v22, s9, v4
	v_dual_mul_f32 v20, s9, v6 :: v_dual_cndmask_b32 v3, v13, v7
	v_lshrrev_b32_e32 v4, 2, v0
	s_add_u32 s62, s24, 8
	s_addc_u32 s63, s25, 0
	v_dual_mul_f32 v21, s9, v5 :: v_dual_and_b32 v8, 15, v7
	v_lshlrev_b32_e32 v24, 2, v3
	v_dual_mov_b32 v30, 0 :: v_dual_and_b32 v3, 24, v4
	v_or_b32_e32 v11, 31, v0
	v_and_b32_e32 v12, 16, v7
	v_and_b32_e32 v4, 3, v7
	s_delay_alu instid0(VALU_DEP_4)
	v_add_nc_u32_e32 v25, 0, v3
	v_lshlrev_b32_e32 v2, 3, v2
	v_cmp_eq_u32_e64 s18, v0, v1
	v_lshlrev_b32_e32 v1, 4, v0
	s_add_u32 s64, s22, 12
	s_addc_u32 s65, s23, 0
	s_add_u32 s66, s24, 12
	s_addc_u32 s67, s25, 0
	s_ashr_i32 s27, s26, 31
	s_mul_i32 s14, s14, s33
	v_cmp_ne_u32_e64 s0, 0, v8
	v_cmp_lt_u32_e64 s1, 1, v8
	v_cmp_lt_u32_e64 s8, 3, v8
	;; [unrolled: 1-line block ×3, first 2 shown]
	v_cmp_ne_u32_e64 s10, 0, v12
	v_cmp_eq_u32_e64 s11, v11, v0
	v_cmp_gt_u32_e64 s12, 4, v0
	v_cmp_lt_u32_e64 s13, 31, v0
	v_lshl_add_u32 v26, v0, 3, 0
	v_cmp_ne_u32_e64 s19, 0, v4
	v_cmp_lt_u32_e64 s16, 1, v4
	v_add_nc_u32_e32 v27, -8, v25
	v_cmp_eq_u32_e64 s17, 0, v7
	v_add_nc_u32_e32 v28, 0, v2
	v_add3_u32 v29, v1, 0, 0x1020
	s_lshl_b64 s[26:27], s[26:27], 2
	v_add_nc_u32_e32 v31, 0x820, v17
	s_lshl_b32 s14, s14, 3
	s_add_u32 s20, s20, s26
	s_mov_b32 s52, 0
	s_addc_u32 s21, s21, s27
	s_mov_b32 s26, s46
	s_branch .LBB4_22
.LBB4_21:                               ;   in Loop: Header=BB4_22 Depth=1
	s_or_b32 exec_lo, exec_lo, s28
	s_waitcnt vmcnt(1)
	v_fma_f32 v1, v12, v1, v2
	v_fmac_f32_e32 v4, v12, v3
	s_waitcnt vmcnt(0)
	v_fma_f32 v2, v12, v5, v6
	v_fmac_f32_e32 v8, v12, v7
	s_add_i32 s52, s52, 4
	s_waitcnt lgkmcnt(1)
	v_dual_fmac_f32 v23, v15, v1 :: v_dual_fmac_f32 v22, v16, v4
	v_add_nc_u32_e32 v29, 0x800, v29
	s_waitcnt lgkmcnt(0)
	v_dual_fmac_f32 v21, v13, v2 :: v_dual_fmac_f32 v20, v14, v8
	s_add_i32 s51, s51, s47
	s_add_i32 s26, s26, 1
	;; [unrolled: 1-line block ×3, first 2 shown]
	s_add_u32 s20, s20, 4
	s_addc_u32 s21, s21, 0
	s_cmp_eq_u32 s52, 32
	s_waitcnt_vscnt null, 0x0
	s_barrier
	buffer_gl0_inv
	s_cbranch_scc1 .LBB4_66
.LBB4_22:                               ; =>This Inner Loop Header: Depth=1
	s_and_saveexec_b32 s68, s3
	s_cbranch_execz .LBB4_27
; %bb.23:                               ;   in Loop: Header=BB4_22 Depth=1
	s_and_b32 vcc_lo, exec_lo, s48
	s_cbranch_vccz .LBB4_65
; %bb.24:                               ;   in Loop: Header=BB4_22 Depth=1
	s_ashr_i32 s27, s14, 31
	s_add_u32 s28, s15, s14
	s_addc_u32 s29, s49, s27
	s_delay_alu instid0(SALU_CYCLE_1) | instskip(NEXT) | instid1(SALU_CYCLE_1)
	s_lshl_b64 s[28:29], s[28:29], 2
	s_add_u32 s70, s50, s28
	s_addc_u32 s71, s53, s29
	s_add_u32 s28, s54, s28
	global_load_b32 v1, v30, s[70:71]
	s_addc_u32 s29, s55, s29
	s_cbranch_execnz .LBB4_26
.LBB4_25:                               ;   in Loop: Header=BB4_22 Depth=1
	s_ashr_i32 s27, s26, 31
	s_waitcnt vmcnt(0)
	v_mov_b32_e32 v1, 1.0
	s_lshl_b64 s[28:29], s[26:27], 2
	s_delay_alu instid0(SALU_CYCLE_1)
	s_add_u32 s28, s36, s28
	s_addc_u32 s29, s37, s29
.LBB4_26:                               ;   in Loop: Header=BB4_22 Depth=1
	global_load_b32 v2, v30, s[28:29]
	s_add_i32 s27, s52, 0
	s_delay_alu instid0(SALU_CYCLE_1)
	v_add_nc_u32_e64 v3, 0x9000, s27
	s_waitcnt vmcnt(0)
	ds_store_2addr_b32 v3, v1, v2 offset0:8 offset1:16
.LBB4_27:                               ;   in Loop: Header=BB4_22 Depth=1
	s_or_b32 exec_lo, exec_lo, s68
	v_dual_mov_b32 v4, 0 :: v_dual_add_nc_u32 v1, s51, v9
	v_mov_b32_e32 v3, 0
	s_delay_alu instid0(VALU_DEP_2)
	v_ashrrev_i32_e32 v2, 31, v1
	s_and_saveexec_b32 s27, s4
	s_cbranch_execz .LBB4_29
; %bb.28:                               ;   in Loop: Header=BB4_22 Depth=1
	s_delay_alu instid0(VALU_DEP_1) | instskip(NEXT) | instid1(VALU_DEP_1)
	v_lshlrev_b64 v[4:5], 2, v[1:2]
	v_add_co_u32 v4, vcc_lo, s22, v4
	s_delay_alu instid0(VALU_DEP_2)
	v_add_co_ci_u32_e32 v5, vcc_lo, s23, v5, vcc_lo
	global_load_b32 v4, v[4:5], off
.LBB4_29:                               ;   in Loop: Header=BB4_22 Depth=1
	s_or_b32 exec_lo, exec_lo, s27
	s_waitcnt vmcnt(0)
	ds_store_b32 v29, v4
	s_and_saveexec_b32 s27, s4
	s_cbranch_execz .LBB4_31
; %bb.30:                               ;   in Loop: Header=BB4_22 Depth=1
	v_lshlrev_b64 v[1:2], 2, v[1:2]
	s_delay_alu instid0(VALU_DEP_1) | instskip(NEXT) | instid1(VALU_DEP_2)
	v_add_co_u32 v1, vcc_lo, s24, v1
	v_add_co_ci_u32_e32 v2, vcc_lo, s25, v2, vcc_lo
	global_load_b32 v3, v[1:2], off
.LBB4_31:                               ;   in Loop: Header=BB4_22 Depth=1
	s_or_b32 exec_lo, exec_lo, s27
	v_dual_mov_b32 v1, 0 :: v_dual_mov_b32 v2, 0
	s_waitcnt vmcnt(0)
	ds_store_b32 v29, v3 offset:16384
	s_and_saveexec_b32 s27, s5
	s_cbranch_execz .LBB4_33
; %bb.32:                               ;   in Loop: Header=BB4_22 Depth=1
	s_ashr_i32 s28, s51, 31
	v_add_co_u32 v2, vcc_lo, s51, v9
	v_add_co_ci_u32_e32 v3, vcc_lo, s28, v10, vcc_lo
	s_delay_alu instid0(VALU_DEP_1) | instskip(NEXT) | instid1(VALU_DEP_1)
	v_lshlrev_b64 v[2:3], 2, v[2:3]
	v_add_co_u32 v2, vcc_lo, s56, v2
	s_delay_alu instid0(VALU_DEP_2)
	v_add_co_ci_u32_e32 v3, vcc_lo, s57, v3, vcc_lo
	global_load_b32 v2, v[2:3], off
.LBB4_33:                               ;   in Loop: Header=BB4_22 Depth=1
	s_or_b32 exec_lo, exec_lo, s27
	s_waitcnt vmcnt(0)
	ds_store_b32 v29, v2 offset:4
	s_and_saveexec_b32 s27, s5
	s_cbranch_execz .LBB4_35
; %bb.34:                               ;   in Loop: Header=BB4_22 Depth=1
	s_ashr_i32 s28, s51, 31
	v_add_co_u32 v1, vcc_lo, s51, v9
	v_add_co_ci_u32_e32 v2, vcc_lo, s28, v10, vcc_lo
	s_delay_alu instid0(VALU_DEP_1) | instskip(NEXT) | instid1(VALU_DEP_1)
	v_lshlrev_b64 v[1:2], 2, v[1:2]
	v_add_co_u32 v1, vcc_lo, s58, v1
	s_delay_alu instid0(VALU_DEP_2)
	v_add_co_ci_u32_e32 v2, vcc_lo, s59, v2, vcc_lo
	global_load_b32 v1, v[1:2], off
.LBB4_35:                               ;   in Loop: Header=BB4_22 Depth=1
	s_or_b32 exec_lo, exec_lo, s27
	v_dual_mov_b32 v2, 0 :: v_dual_mov_b32 v3, 0
	s_waitcnt vmcnt(0)
	ds_store_b32 v29, v1 offset:16388
	s_and_saveexec_b32 s27, s6
	s_cbranch_execz .LBB4_37
; %bb.36:                               ;   in Loop: Header=BB4_22 Depth=1
	s_ashr_i32 s28, s51, 31
	v_add_co_u32 v3, vcc_lo, s51, v9
	v_add_co_ci_u32_e32 v4, vcc_lo, s28, v10, vcc_lo
	s_delay_alu instid0(VALU_DEP_1) | instskip(NEXT) | instid1(VALU_DEP_1)
	v_lshlrev_b64 v[3:4], 2, v[3:4]
	v_add_co_u32 v3, vcc_lo, s60, v3
	s_delay_alu instid0(VALU_DEP_2)
	v_add_co_ci_u32_e32 v4, vcc_lo, s61, v4, vcc_lo
	global_load_b32 v3, v[3:4], off
.LBB4_37:                               ;   in Loop: Header=BB4_22 Depth=1
	s_or_b32 exec_lo, exec_lo, s27
	s_waitcnt vmcnt(0)
	ds_store_b32 v29, v3 offset:8
	s_and_saveexec_b32 s27, s6
	s_cbranch_execz .LBB4_39
; %bb.38:                               ;   in Loop: Header=BB4_22 Depth=1
	s_ashr_i32 s28, s51, 31
	v_add_co_u32 v1, vcc_lo, s51, v9
	v_add_co_ci_u32_e32 v2, vcc_lo, s28, v10, vcc_lo
	s_delay_alu instid0(VALU_DEP_1) | instskip(NEXT) | instid1(VALU_DEP_1)
	v_lshlrev_b64 v[1:2], 2, v[1:2]
	v_add_co_u32 v1, vcc_lo, s62, v1
	s_delay_alu instid0(VALU_DEP_2)
	v_add_co_ci_u32_e32 v2, vcc_lo, s63, v2, vcc_lo
	global_load_b32 v2, v[1:2], off
.LBB4_39:                               ;   in Loop: Header=BB4_22 Depth=1
	s_or_b32 exec_lo, exec_lo, s27
	v_mov_b32_e32 v1, 0
	v_mov_b32_e32 v3, 0
	s_waitcnt vmcnt(0)
	ds_store_b32 v29, v2 offset:16392
	s_and_saveexec_b32 s27, s7
	s_cbranch_execz .LBB4_41
; %bb.40:                               ;   in Loop: Header=BB4_22 Depth=1
	s_ashr_i32 s28, s51, 31
	v_add_co_u32 v2, vcc_lo, s51, v9
	v_add_co_ci_u32_e32 v3, vcc_lo, s28, v10, vcc_lo
	s_delay_alu instid0(VALU_DEP_1) | instskip(NEXT) | instid1(VALU_DEP_1)
	v_lshlrev_b64 v[2:3], 2, v[2:3]
	v_add_co_u32 v2, vcc_lo, s64, v2
	s_delay_alu instid0(VALU_DEP_2)
	v_add_co_ci_u32_e32 v3, vcc_lo, s65, v3, vcc_lo
	global_load_b32 v3, v[2:3], off
.LBB4_41:                               ;   in Loop: Header=BB4_22 Depth=1
	s_or_b32 exec_lo, exec_lo, s27
	s_waitcnt vmcnt(0)
	ds_store_b32 v29, v3 offset:12
	s_and_saveexec_b32 s27, s7
	s_cbranch_execz .LBB4_43
; %bb.42:                               ;   in Loop: Header=BB4_22 Depth=1
	s_ashr_i32 s28, s51, 31
	v_add_co_u32 v1, vcc_lo, s51, v9
	v_add_co_ci_u32_e32 v2, vcc_lo, s28, v10, vcc_lo
	s_delay_alu instid0(VALU_DEP_1) | instskip(NEXT) | instid1(VALU_DEP_1)
	v_lshlrev_b64 v[1:2], 2, v[1:2]
	v_add_co_u32 v1, vcc_lo, s66, v1
	s_delay_alu instid0(VALU_DEP_2)
	v_add_co_ci_u32_e32 v2, vcc_lo, s67, v2, vcc_lo
	global_load_b32 v1, v[1:2], off
.LBB4_43:                               ;   in Loop: Header=BB4_22 Depth=1
	s_or_b32 exec_lo, exec_lo, s27
	s_waitcnt vmcnt(0)
	ds_store_b32 v29, v1 offset:16396
	s_waitcnt lgkmcnt(0)
	s_barrier
	buffer_gl0_inv
	global_load_b32 v15, v30, s[20:21]
	ds_load_2addr_b32 v[1:2], v31 offset1:1
	ds_load_2addr_b32 v[3:4], v19 offset0:2 offset1:3
	ds_load_2addr_b32 v[5:6], v29 offset1:1
	ds_load_2addr_b32 v[7:8], v29 offset0:2 offset1:3
	ds_load_2addr_b32 v[11:12], v17 offset0:8 offset1:9
	;; [unrolled: 1-line block ×3, first 2 shown]
	s_add_i32 s27, s52, 0
	s_delay_alu instid0(SALU_CYCLE_1)
	v_add_nc_u32_e64 v34, 0x9000, s27
	s_waitcnt lgkmcnt(3)
	v_dual_mul_f32 v6, v2, v6 :: v_dual_mul_f32 v5, v1, v5
	s_waitcnt vmcnt(0)
	v_mul_f32_e32 v32, v2, v15
	v_mul_f32_e32 v33, v3, v15
	;; [unrolled: 1-line block ×4, first 2 shown]
	s_waitcnt lgkmcnt(2)
	v_dual_mul_f32 v3, v3, v7 :: v_dual_mul_f32 v32, 0x3fb8aa3b, v32
	s_delay_alu instid0(VALU_DEP_3) | instskip(SKIP_2) | instid1(VALU_DEP_3)
	v_dual_mul_f32 v35, 0x3fb8aa3b, v33 :: v_dual_mul_f32 v16, 0x3fb8aa3b, v16
	s_waitcnt lgkmcnt(1)
	v_dual_mul_f32 v2, v11, v5 :: v_dual_mul_f32 v5, 0x3fb8aa3b, v15
	v_exp_f32_e32 v33, v32
	s_delay_alu instid0(VALU_DEP_2)
	v_exp_f32_e32 v35, v35
	v_exp_f32_e32 v1, v16
	s_waitcnt lgkmcnt(0)
	v_dual_mul_f32 v15, v12, v6 :: v_dual_mul_f32 v16, v13, v3
	v_mul_f32_e32 v6, v4, v8
	v_exp_f32_e32 v32, v5
	ds_load_2addr_b32 v[11:12], v34 offset0:8 offset1:16
	v_fma_f32 v4, v2, v33, v15
	v_dual_mul_f32 v3, v1, v33 :: v_dual_mul_f32 v34, v14, v6
	s_delay_alu instid0(VALU_DEP_2) | instskip(NEXT) | instid1(VALU_DEP_2)
	v_fma_f32 v6, v4, v35, v16
	v_mul_f32_e32 v5, v3, v35
	s_delay_alu instid0(VALU_DEP_2) | instskip(NEXT) | instid1(VALU_DEP_1)
	v_fma_f32 v8, v6, v32, v34
	v_dual_mul_f32 v7, v5, v32 :: v_dual_mov_b32 v36, v8
	v_mov_b32_dpp v39, v8 row_shr:1 row_mask:0xf bank_mask:0xf
	s_delay_alu instid0(VALU_DEP_2)
	v_mov_b32_dpp v38, v7 row_shr:1 row_mask:0xf bank_mask:0xf
	v_dual_mov_b32 v37, v7 :: v_dual_mov_b32 v14, v8
	v_mov_b32_e32 v13, v7
	s_and_saveexec_b32 s28, s0
; %bb.44:                               ;   in Loop: Header=BB4_22 Depth=1
	s_delay_alu instid0(VALU_DEP_3) | instskip(NEXT) | instid1(VALU_DEP_1)
	v_dual_mov_b32 v36, v8 :: v_dual_mul_f32 v37, v7, v38
	v_dual_fmac_f32 v36, v7, v39 :: v_dual_mov_b32 v13, v37
	s_delay_alu instid0(VALU_DEP_1)
	v_mov_b32_e32 v14, v36
; %bb.45:                               ;   in Loop: Header=BB4_22 Depth=1
	s_or_b32 exec_lo, exec_lo, s28
	s_delay_alu instid0(VALU_DEP_2) | instskip(NEXT) | instid1(VALU_DEP_2)
	v_mov_b32_dpp v38, v13 row_shr:2 row_mask:0xf bank_mask:0xf
	v_mov_b32_dpp v39, v14 row_shr:2 row_mask:0xf bank_mask:0xf
	s_and_saveexec_b32 s28, s1
; %bb.46:                               ;   in Loop: Header=BB4_22 Depth=1
	s_delay_alu instid0(VALU_DEP_1) | instskip(NEXT) | instid1(VALU_DEP_1)
	v_fmac_f32_e32 v36, v37, v39
	v_dual_mul_f32 v13, v37, v38 :: v_dual_mov_b32 v14, v36
	s_delay_alu instid0(VALU_DEP_1)
	v_mov_b32_e32 v37, v13
; %bb.47:                               ;   in Loop: Header=BB4_22 Depth=1
	s_or_b32 exec_lo, exec_lo, s28
	v_mov_b32_dpp v38, v13 row_shr:4 row_mask:0xf bank_mask:0xf
	s_delay_alu instid0(VALU_DEP_3)
	v_mov_b32_dpp v39, v14 row_shr:4 row_mask:0xf bank_mask:0xf
	s_and_saveexec_b32 s28, s8
; %bb.48:                               ;   in Loop: Header=BB4_22 Depth=1
	s_delay_alu instid0(VALU_DEP_1) | instskip(NEXT) | instid1(VALU_DEP_1)
	v_fmac_f32_e32 v36, v37, v39
	v_dual_mul_f32 v13, v37, v38 :: v_dual_mov_b32 v14, v36
	s_delay_alu instid0(VALU_DEP_1)
	v_mov_b32_e32 v37, v13
; %bb.49:                               ;   in Loop: Header=BB4_22 Depth=1
	s_or_b32 exec_lo, exec_lo, s28
	v_mov_b32_dpp v38, v13 row_shr:8 row_mask:0xf bank_mask:0xf
	s_delay_alu instid0(VALU_DEP_3)
	v_mov_b32_dpp v39, v14 row_shr:8 row_mask:0xf bank_mask:0xf
	s_and_saveexec_b32 s28, s9
; %bb.50:                               ;   in Loop: Header=BB4_22 Depth=1
	s_delay_alu instid0(VALU_DEP_1) | instskip(NEXT) | instid1(VALU_DEP_1)
	v_fmac_f32_e32 v36, v37, v39
	v_dual_mul_f32 v13, v37, v38 :: v_dual_mov_b32 v14, v36
	s_delay_alu instid0(VALU_DEP_1)
	v_mov_b32_e32 v37, v13
; %bb.51:                               ;   in Loop: Header=BB4_22 Depth=1
	s_or_b32 exec_lo, exec_lo, s28
	ds_swizzle_b32 v38, v13 offset:swizzle(BROADCAST,32,15)
	ds_swizzle_b32 v39, v14 offset:swizzle(BROADCAST,32,15)
	s_and_saveexec_b32 s28, s10
	s_cbranch_execz .LBB4_53
; %bb.52:                               ;   in Loop: Header=BB4_22 Depth=1
	s_waitcnt lgkmcnt(0)
	v_fmac_f32_e32 v36, v37, v39
	s_delay_alu instid0(VALU_DEP_1) | instskip(NEXT) | instid1(VALU_DEP_1)
	v_dual_mul_f32 v37, v37, v38 :: v_dual_mov_b32 v14, v36
	v_mov_b32_e32 v13, v37
.LBB4_53:                               ;   in Loop: Header=BB4_22 Depth=1
	s_or_b32 exec_lo, exec_lo, s28
	s_and_saveexec_b32 s28, s11
	s_cbranch_execz .LBB4_55
; %bb.54:                               ;   in Loop: Header=BB4_22 Depth=1
	ds_store_2addr_b32 v25, v13, v14 offset1:1
.LBB4_55:                               ;   in Loop: Header=BB4_22 Depth=1
	s_or_b32 exec_lo, exec_lo, s28
	s_waitcnt lgkmcnt(0)
	s_barrier
	buffer_gl0_inv
	s_and_saveexec_b32 s28, s12
	s_cbranch_execz .LBB4_59
; %bb.56:                               ;   in Loop: Header=BB4_22 Depth=1
	ds_load_2addr_b32 v[13:14], v26 offset1:1
	s_waitcnt lgkmcnt(0)
	v_mov_b32_dpp v38, v13 row_shr:1 row_mask:0xf bank_mask:0xf
	v_mov_b32_dpp v39, v14 row_shr:1 row_mask:0xf bank_mask:0xf
	s_and_saveexec_b32 s29, s19
; %bb.57:                               ;   in Loop: Header=BB4_22 Depth=1
	s_delay_alu instid0(VALU_DEP_1) | instskip(NEXT) | instid1(VALU_DEP_3)
	v_fma_f32 v14, v13, v39, v14
	v_mul_f32_e32 v13, v13, v38
; %bb.58:                               ;   in Loop: Header=BB4_22 Depth=1
	s_or_b32 exec_lo, exec_lo, s29
	s_delay_alu instid0(VALU_DEP_1) | instskip(NEXT) | instid1(VALU_DEP_3)
	v_mov_b32_dpp v38, v13 row_shr:2 row_mask:0xf bank_mask:0xf
	v_mov_b32_dpp v39, v14 row_shr:2 row_mask:0xf bank_mask:0xf
	s_delay_alu instid0(VALU_DEP_2) | instskip(NEXT) | instid1(VALU_DEP_2)
	v_mul_f32_e32 v38, v13, v38
	v_fma_f32 v39, v13, v39, v14
	s_delay_alu instid0(VALU_DEP_2) | instskip(NEXT) | instid1(VALU_DEP_2)
	v_cndmask_b32_e64 v13, v13, v38, s16
	v_cndmask_b32_e64 v14, v14, v39, s16
	ds_store_2addr_b32 v26, v13, v14 offset1:1
.LBB4_59:                               ;   in Loop: Header=BB4_22 Depth=1
	s_or_b32 exec_lo, exec_lo, s28
	s_waitcnt lgkmcnt(0)
	s_barrier
	buffer_gl0_inv
                                        ; implicit-def: $vgpr14
	s_and_saveexec_b32 s28, s13
	s_cbranch_execz .LBB4_61
; %bb.60:                               ;   in Loop: Header=BB4_22 Depth=1
	ds_load_2addr_b32 v[13:14], v27 offset1:1
	s_waitcnt lgkmcnt(0)
	v_mul_f32_e32 v38, v37, v13
	s_delay_alu instid0(VALU_DEP_1)
	v_dual_fmac_f32 v36, v37, v14 :: v_dual_mov_b32 v37, v38
.LBB4_61:                               ;   in Loop: Header=BB4_22 Depth=1
	s_or_b32 exec_lo, exec_lo, s28
	ds_bpermute_b32 v37, v24, v37
	ds_bpermute_b32 v36, v24, v36
	s_and_saveexec_b32 s28, s2
	s_cbranch_execz .LBB4_63
; %bb.62:                               ;   in Loop: Header=BB4_22 Depth=1
	s_waitcnt lgkmcnt(0)
	v_cndmask_b32_e64 v3, v36, v14, s17
	v_cndmask_b32_e64 v4, v37, v13, s17
	;;#ASMSTART
	;;#ASMEND
	s_delay_alu instid0(VALU_DEP_2) | instskip(NEXT) | instid1(VALU_DEP_1)
	v_fmac_f32_e32 v2, v1, v3
	v_fmac_f32_e32 v15, v2, v33
	s_delay_alu instid0(VALU_DEP_1) | instskip(NEXT) | instid1(VALU_DEP_1)
	v_dual_mul_f32 v1, v1, v4 :: v_dual_fmac_f32 v16, v15, v35
	v_dual_fmac_f32 v34, v16, v32 :: v_dual_mul_f32 v3, v1, v33
	v_mov_b32_e32 v4, v15
	v_mov_b32_e32 v6, v16
	s_delay_alu instid0(VALU_DEP_3) | instskip(NEXT) | instid1(VALU_DEP_1)
	v_dual_mov_b32 v8, v34 :: v_dual_mul_f32 v5, v3, v35
	v_mul_f32_e32 v7, v5, v32
.LBB4_63:                               ;   in Loop: Header=BB4_22 Depth=1
	s_or_b32 exec_lo, exec_lo, s28
	s_clause 0x1
	scratch_store_b128 off, v[1:4], off
	scratch_store_b128 off, v[5:8], off offset:16
	s_waitcnt lgkmcnt(0)
	s_waitcnt_vscnt null, 0x0
	s_barrier
	buffer_gl0_inv
	s_clause 0x1
	scratch_load_b128 v[1:4], off, off
	scratch_load_b128 v[5:8], off, off offset:16
	v_add_nc_u32_e32 v13, 0x4000, v29
	v_add_nc_u32_e32 v14, 0x4008, v29
	ds_load_2addr_b32 v[15:16], v13 offset1:1
	ds_load_2addr_b32 v[13:14], v14 offset1:1
	s_and_saveexec_b32 s28, s18
	s_cbranch_execz .LBB4_21
; %bb.64:                               ;   in Loop: Header=BB4_22 Depth=1
	scratch_load_b64 v[32:33], v28, off
	s_add_i32 s68, s15, s14
	v_add_nc_u32_e64 v34, 0x9000, s27
	s_ashr_i32 s69, s68, 31
	s_delay_alu instid0(SALU_CYCLE_1) | instskip(NEXT) | instid1(SALU_CYCLE_1)
	s_lshl_b64 s[68:69], s[68:69], 2
	s_add_u32 s70, s40, s68
	s_addc_u32 s71, s41, s69
	s_add_u32 s68, s42, s68
	s_addc_u32 s69, s43, s69
	s_waitcnt vmcnt(0)
	v_mul_f32_e32 v11, v11, v32
	v_fmac_f32_e32 v33, v12, v32
	s_clause 0x1
	global_store_b32 v30, v11, s[70:71]
	global_store_b32 v30, v33, s[68:69]
	ds_store_2addr_b32 v34, v11, v33 offset0:8 offset1:16
	s_branch .LBB4_21
.LBB4_65:                               ;   in Loop: Header=BB4_22 Depth=1
                                        ; implicit-def: $sgpr28_sgpr29
                                        ; implicit-def: $vgpr1
	s_branch .LBB4_25
.LBB4_66:
	s_add_u32 s0, s30, s34
	s_addc_u32 s1, s31, s35
	s_add_u32 s2, s0, s44
	s_addc_u32 s3, s1, s45
	v_lshlrev_b64 v[1:2], 2, v[9:10]
	s_add_u32 s0, s38, s34
	s_addc_u32 s1, s39, s35
	s_add_u32 s0, s0, s44
	s_addc_u32 s1, s1, s45
	s_and_saveexec_b32 s8, s4
	s_cbranch_execnz .LBB4_74
; %bb.67:
	s_or_b32 exec_lo, exec_lo, s8
	s_and_saveexec_b32 s4, s5
	s_cbranch_execnz .LBB4_75
.LBB4_68:
	s_or_b32 exec_lo, exec_lo, s4
	s_and_saveexec_b32 s4, s6
	s_cbranch_execnz .LBB4_76
.LBB4_69:
	s_or_b32 exec_lo, exec_lo, s4
	s_and_saveexec_b32 s4, s7
	s_cbranch_execz .LBB4_71
.LBB4_70:
	v_add_co_u32 v3, vcc_lo, s2, v1
	v_add_co_ci_u32_e32 v4, vcc_lo, s3, v2, vcc_lo
	global_load_b32 v3, v[3:4], off offset:12
	s_waitcnt vmcnt(0)
	v_mul_f32_e32 v4, 0xbfb8aa3b, v3
	s_delay_alu instid0(VALU_DEP_1) | instskip(SKIP_2) | instid1(VALU_DEP_1)
	v_exp_f32_e32 v4, v4
	s_waitcnt_depctr 0xfff
	v_add_f32_e32 v4, 1.0, v4
	v_div_scale_f32 v5, null, v4, v4, v3
	v_div_scale_f32 v8, vcc_lo, v3, v4, v3
	s_delay_alu instid0(VALU_DEP_2) | instskip(SKIP_2) | instid1(VALU_DEP_1)
	v_rcp_f32_e32 v6, v5
	s_waitcnt_depctr 0xfff
	v_fma_f32 v7, -v5, v6, 1.0
	v_fmac_f32_e32 v6, v7, v6
	s_delay_alu instid0(VALU_DEP_1) | instskip(NEXT) | instid1(VALU_DEP_1)
	v_mul_f32_e32 v7, v8, v6
	v_fma_f32 v9, -v5, v7, v8
	s_delay_alu instid0(VALU_DEP_1) | instskip(NEXT) | instid1(VALU_DEP_1)
	v_fmac_f32_e32 v7, v9, v6
	v_fma_f32 v5, -v5, v7, v8
	s_delay_alu instid0(VALU_DEP_1) | instskip(SKIP_2) | instid1(VALU_DEP_3)
	v_div_fmas_f32 v5, v5, v6, v7
	v_add_co_u32 v1, vcc_lo, s0, v1
	v_add_co_ci_u32_e32 v2, vcc_lo, s1, v2, vcc_lo
	v_div_fixup_f32 v3, v5, v4, v3
	s_delay_alu instid0(VALU_DEP_1)
	v_mul_f32_e32 v3, v20, v3
	global_store_b32 v[1:2], v3, off offset:12
.LBB4_71:
	s_or_b32 exec_lo, exec_lo, s4
	s_add_i32 s33, s33, -1
	v_cmp_gt_u32_e32 vcc_lo, 8, v0
	s_cmp_eq_u32 s15, s33
	s_cselect_b32 s0, -1, 0
	s_delay_alu instid0(SALU_CYCLE_1) | instskip(NEXT) | instid1(SALU_CYCLE_1)
	s_and_b32 s0, vcc_lo, s0
	s_and_saveexec_b32 s1, s0
	s_cbranch_execz .LBB4_73
; %bb.72:
	v_lshl_add_u32 v1, v0, 2, 0
	v_add_nc_u32_e32 v0, s46, v0
	ds_load_b32 v2, v1 offset:36928
	v_ashrrev_i32_e32 v1, 31, v0
	s_delay_alu instid0(VALU_DEP_1) | instskip(NEXT) | instid1(VALU_DEP_1)
	v_lshlrev_b64 v[0:1], 2, v[0:1]
	v_add_co_u32 v0, vcc_lo, s36, v0
	s_delay_alu instid0(VALU_DEP_2)
	v_add_co_ci_u32_e32 v1, vcc_lo, s37, v1, vcc_lo
	s_waitcnt lgkmcnt(0)
	global_store_b32 v[0:1], v2, off
.LBB4_73:
	s_nop 0
	s_sendmsg sendmsg(MSG_DEALLOC_VGPRS)
	s_endpgm
.LBB4_74:
	v_add_co_u32 v3, vcc_lo, s2, v1
	v_add_co_ci_u32_e32 v4, vcc_lo, s3, v2, vcc_lo
	global_load_b32 v3, v[3:4], off
	s_waitcnt vmcnt(0)
	v_mul_f32_e32 v4, 0xbfb8aa3b, v3
	s_delay_alu instid0(VALU_DEP_1) | instskip(SKIP_2) | instid1(VALU_DEP_1)
	v_exp_f32_e32 v4, v4
	s_waitcnt_depctr 0xfff
	v_add_f32_e32 v4, 1.0, v4
	v_div_scale_f32 v5, null, v4, v4, v3
	v_div_scale_f32 v8, vcc_lo, v3, v4, v3
	s_delay_alu instid0(VALU_DEP_2) | instskip(SKIP_2) | instid1(VALU_DEP_1)
	v_rcp_f32_e32 v6, v5
	s_waitcnt_depctr 0xfff
	v_fma_f32 v7, -v5, v6, 1.0
	v_fmac_f32_e32 v6, v7, v6
	s_delay_alu instid0(VALU_DEP_1) | instskip(NEXT) | instid1(VALU_DEP_1)
	v_mul_f32_e32 v7, v8, v6
	v_fma_f32 v9, -v5, v7, v8
	s_delay_alu instid0(VALU_DEP_1) | instskip(NEXT) | instid1(VALU_DEP_1)
	v_fmac_f32_e32 v7, v9, v6
	v_fma_f32 v5, -v5, v7, v8
	s_delay_alu instid0(VALU_DEP_1) | instskip(NEXT) | instid1(VALU_DEP_1)
	v_div_fmas_f32 v5, v5, v6, v7
	v_div_fixup_f32 v3, v5, v4, v3
	s_delay_alu instid0(VALU_DEP_1)
	v_mul_f32_e32 v5, v23, v3
	v_add_co_u32 v3, vcc_lo, s0, v1
	v_add_co_ci_u32_e32 v4, vcc_lo, s1, v2, vcc_lo
	global_store_b32 v[3:4], v5, off
	s_or_b32 exec_lo, exec_lo, s8
	s_and_saveexec_b32 s4, s5
	s_cbranch_execz .LBB4_68
.LBB4_75:
	v_add_co_u32 v3, vcc_lo, s2, v1
	v_add_co_ci_u32_e32 v4, vcc_lo, s3, v2, vcc_lo
	global_load_b32 v3, v[3:4], off offset:4
	s_waitcnt vmcnt(0)
	v_mul_f32_e32 v4, 0xbfb8aa3b, v3
	s_delay_alu instid0(VALU_DEP_1) | instskip(SKIP_2) | instid1(VALU_DEP_1)
	v_exp_f32_e32 v4, v4
	s_waitcnt_depctr 0xfff
	v_add_f32_e32 v4, 1.0, v4
	v_div_scale_f32 v5, null, v4, v4, v3
	v_div_scale_f32 v8, vcc_lo, v3, v4, v3
	s_delay_alu instid0(VALU_DEP_2) | instskip(SKIP_2) | instid1(VALU_DEP_1)
	v_rcp_f32_e32 v6, v5
	s_waitcnt_depctr 0xfff
	v_fma_f32 v7, -v5, v6, 1.0
	v_fmac_f32_e32 v6, v7, v6
	s_delay_alu instid0(VALU_DEP_1) | instskip(NEXT) | instid1(VALU_DEP_1)
	v_mul_f32_e32 v7, v8, v6
	v_fma_f32 v9, -v5, v7, v8
	s_delay_alu instid0(VALU_DEP_1) | instskip(NEXT) | instid1(VALU_DEP_1)
	v_fmac_f32_e32 v7, v9, v6
	v_fma_f32 v5, -v5, v7, v8
	s_delay_alu instid0(VALU_DEP_1) | instskip(NEXT) | instid1(VALU_DEP_1)
	v_div_fmas_f32 v5, v5, v6, v7
	v_div_fixup_f32 v3, v5, v4, v3
	s_delay_alu instid0(VALU_DEP_1)
	v_mul_f32_e32 v5, v22, v3
	v_add_co_u32 v3, vcc_lo, s0, v1
	v_add_co_ci_u32_e32 v4, vcc_lo, s1, v2, vcc_lo
	global_store_b32 v[3:4], v5, off offset:4
	s_or_b32 exec_lo, exec_lo, s4
	s_and_saveexec_b32 s4, s6
	s_cbranch_execz .LBB4_69
.LBB4_76:
	v_add_co_u32 v3, vcc_lo, s2, v1
	v_add_co_ci_u32_e32 v4, vcc_lo, s3, v2, vcc_lo
	global_load_b32 v3, v[3:4], off offset:8
	s_waitcnt vmcnt(0)
	v_mul_f32_e32 v4, 0xbfb8aa3b, v3
	s_delay_alu instid0(VALU_DEP_1) | instskip(SKIP_2) | instid1(VALU_DEP_1)
	v_exp_f32_e32 v4, v4
	s_waitcnt_depctr 0xfff
	v_add_f32_e32 v4, 1.0, v4
	v_div_scale_f32 v5, null, v4, v4, v3
	v_div_scale_f32 v8, vcc_lo, v3, v4, v3
	s_delay_alu instid0(VALU_DEP_2) | instskip(SKIP_2) | instid1(VALU_DEP_1)
	v_rcp_f32_e32 v6, v5
	s_waitcnt_depctr 0xfff
	v_fma_f32 v7, -v5, v6, 1.0
	v_fmac_f32_e32 v6, v7, v6
	s_delay_alu instid0(VALU_DEP_1) | instskip(NEXT) | instid1(VALU_DEP_1)
	v_mul_f32_e32 v7, v8, v6
	v_fma_f32 v9, -v5, v7, v8
	s_delay_alu instid0(VALU_DEP_1) | instskip(NEXT) | instid1(VALU_DEP_1)
	v_fmac_f32_e32 v7, v9, v6
	v_fma_f32 v5, -v5, v7, v8
	s_delay_alu instid0(VALU_DEP_1) | instskip(NEXT) | instid1(VALU_DEP_1)
	v_div_fmas_f32 v5, v5, v6, v7
	v_div_fixup_f32 v3, v5, v4, v3
	s_delay_alu instid0(VALU_DEP_1)
	v_mul_f32_e32 v5, v21, v3
	v_add_co_u32 v3, vcc_lo, s0, v1
	v_add_co_ci_u32_e32 v4, vcc_lo, s1, v2, vcc_lo
	global_store_b32 v[3:4], v5, off offset:8
	s_or_b32 exec_lo, exec_lo, s4
	s_and_saveexec_b32 s4, s7
	s_cbranch_execnz .LBB4_70
	s_branch .LBB4_71
	.section	.rodata,"a",@progbits
	.p2align	6, 0x0
	.amdhsa_kernel _Z26selective_scan_vllm_kernelI18SSMFwdKernelTraitsILi128ELi4ELi8ELb1ELb0ELb0EEEv13SSMParamsBase
		.amdhsa_group_segment_fixed_size 0
		.amdhsa_private_segment_fixed_size 48
		.amdhsa_kernarg_size 144
		.amdhsa_user_sgpr_count 14
		.amdhsa_user_sgpr_dispatch_ptr 0
		.amdhsa_user_sgpr_queue_ptr 0
		.amdhsa_user_sgpr_kernarg_segment_ptr 1
		.amdhsa_user_sgpr_dispatch_id 0
		.amdhsa_user_sgpr_private_segment_size 0
		.amdhsa_wavefront_size32 1
		.amdhsa_uses_dynamic_stack 0
		.amdhsa_enable_private_segment 1
		.amdhsa_system_sgpr_workgroup_id_x 1
		.amdhsa_system_sgpr_workgroup_id_y 1
		.amdhsa_system_sgpr_workgroup_id_z 0
		.amdhsa_system_sgpr_workgroup_info 0
		.amdhsa_system_vgpr_workitem_id 0
		.amdhsa_next_free_vgpr 40
		.amdhsa_next_free_sgpr 72
		.amdhsa_reserve_vcc 1
		.amdhsa_float_round_mode_32 0
		.amdhsa_float_round_mode_16_64 0
		.amdhsa_float_denorm_mode_32 3
		.amdhsa_float_denorm_mode_16_64 3
		.amdhsa_dx10_clamp 1
		.amdhsa_ieee_mode 1
		.amdhsa_fp16_overflow 0
		.amdhsa_workgroup_processor_mode 1
		.amdhsa_memory_ordered 1
		.amdhsa_forward_progress 0
		.amdhsa_shared_vgpr_count 0
		.amdhsa_exception_fp_ieee_invalid_op 0
		.amdhsa_exception_fp_denorm_src 0
		.amdhsa_exception_fp_ieee_div_zero 0
		.amdhsa_exception_fp_ieee_overflow 0
		.amdhsa_exception_fp_ieee_underflow 0
		.amdhsa_exception_fp_ieee_inexact 0
		.amdhsa_exception_int_div_zero 0
	.end_amdhsa_kernel
	.section	.text._Z26selective_scan_vllm_kernelI18SSMFwdKernelTraitsILi128ELi4ELi8ELb1ELb0ELb0EEEv13SSMParamsBase,"axG",@progbits,_Z26selective_scan_vllm_kernelI18SSMFwdKernelTraitsILi128ELi4ELi8ELb1ELb0ELb0EEEv13SSMParamsBase,comdat
.Lfunc_end4:
	.size	_Z26selective_scan_vllm_kernelI18SSMFwdKernelTraitsILi128ELi4ELi8ELb1ELb0ELb0EEEv13SSMParamsBase, .Lfunc_end4-_Z26selective_scan_vllm_kernelI18SSMFwdKernelTraitsILi128ELi4ELi8ELb1ELb0ELb0EEEv13SSMParamsBase
                                        ; -- End function
	.section	.AMDGPU.csdata,"",@progbits
; Kernel info:
; codeLenInByte = 4256
; NumSgprs: 74
; NumVgprs: 40
; ScratchSize: 48
; MemoryBound: 0
; FloatMode: 240
; IeeeMode: 1
; LDSByteSize: 0 bytes/workgroup (compile time only)
; SGPRBlocks: 9
; VGPRBlocks: 4
; NumSGPRsForWavesPerEU: 74
; NumVGPRsForWavesPerEU: 40
; Occupancy: 16
; WaveLimiterHint : 0
; COMPUTE_PGM_RSRC2:SCRATCH_EN: 1
; COMPUTE_PGM_RSRC2:USER_SGPR: 14
; COMPUTE_PGM_RSRC2:TRAP_HANDLER: 0
; COMPUTE_PGM_RSRC2:TGID_X_EN: 1
; COMPUTE_PGM_RSRC2:TGID_Y_EN: 1
; COMPUTE_PGM_RSRC2:TGID_Z_EN: 0
; COMPUTE_PGM_RSRC2:TIDIG_COMP_CNT: 0
	.section	.text._Z26selective_scan_vllm_kernelI18SSMFwdKernelTraitsILi128ELi4ELi8ELb0ELb1ELb1EEEv13SSMParamsBase,"axG",@progbits,_Z26selective_scan_vllm_kernelI18SSMFwdKernelTraitsILi128ELi4ELi8ELb0ELb1ELb1EEEv13SSMParamsBase,comdat
	.protected	_Z26selective_scan_vllm_kernelI18SSMFwdKernelTraitsILi128ELi4ELi8ELb0ELb1ELb1EEEv13SSMParamsBase ; -- Begin function _Z26selective_scan_vllm_kernelI18SSMFwdKernelTraitsILi128ELi4ELi8ELb0ELb1ELb1EEEv13SSMParamsBase
	.globl	_Z26selective_scan_vllm_kernelI18SSMFwdKernelTraitsILi128ELi4ELi8ELb0ELb1ELb1EEEv13SSMParamsBase
	.p2align	8
	.type	_Z26selective_scan_vllm_kernelI18SSMFwdKernelTraitsILi128ELi4ELi8ELb0ELb1ELb1EEEv13SSMParamsBase,@function
_Z26selective_scan_vllm_kernelI18SSMFwdKernelTraitsILi128ELi4ELi8ELb0ELb1ELb1EEEv13SSMParamsBase: ; @_Z26selective_scan_vllm_kernelI18SSMFwdKernelTraitsILi128ELi4ELi8ELb0ELb1ELb1EEEv13SSMParamsBase
; %bb.0:
	s_clause 0x7
	s_load_b32 s4, s[0:1], 0x4
	s_load_b32 s33, s[0:1], 0x10
	s_load_b128 s[28:31], s[0:1], 0x38
	s_load_b64 s[2:3], s[0:1], 0x48
	s_load_b256 s[20:27], s[0:1], 0x58
	s_load_b64 s[44:45], s[0:1], 0x88
	s_load_b128 s[16:19], s[0:1], 0x78
	s_load_b256 s[36:43], s[0:1], 0x18
	v_cmp_eq_u32_e64 s1, 0, v0
	s_abs_i32 s8, s14
	s_ashr_i32 s7, s14, 31
	s_mov_b32 s48, 0
	s_waitcnt lgkmcnt(0)
	s_abs_i32 s5, s4
	s_ashr_i32 s9, s4, 31
	v_cvt_f32_u32_e32 v1, s5
	s_sub_i32 s0, 0, s5
	s_delay_alu instid0(VALU_DEP_1) | instskip(SKIP_2) | instid1(VALU_DEP_1)
	v_rcp_iflag_f32_e32 v1, v1
	s_waitcnt_depctr 0xfff
	v_mul_f32_e32 v1, 0x4f7ffffe, v1
	v_cvt_u32_f32_e32 v1, v1
	s_delay_alu instid0(VALU_DEP_1) | instskip(NEXT) | instid1(VALU_DEP_1)
	v_readfirstlane_b32 s6, v1
	s_mul_i32 s0, s0, s6
	s_delay_alu instid0(SALU_CYCLE_1) | instskip(SKIP_2) | instid1(SALU_CYCLE_1)
	s_mul_hi_u32 s10, s6, s0
	v_cmp_ne_u32_e64 s0, 0, v0
	s_add_i32 s6, s6, s10
	s_mul_hi_u32 s6, s8, s6
	s_and_saveexec_b32 s10, s1
	s_cbranch_execz .LBB5_2
; %bb.1:
	v_dual_mov_b32 v1, 0x7f :: v_dual_mov_b32 v2, 3
	v_mov_b32_e32 v3, 0
	ds_store_b64 v3, v[1:2] offset:36960
.LBB5_2:
	s_or_b32 exec_lo, exec_lo, s10
	s_mul_i32 s10, s6, s5
	s_xor_b32 s7, s7, s9
	s_sub_i32 s8, s8, s10
	s_add_i32 s9, s6, 1
	s_sub_i32 s10, s8, s5
	s_cmp_ge_u32 s8, s5
	v_dual_mov_b32 v22, 0 :: v_dual_lshlrev_b32 v11, 2, v0
	s_cselect_b32 s6, s9, s6
	s_cselect_b32 s8, s10, s8
	s_add_i32 s9, s6, 1
	s_cmp_ge_u32 s8, s5
	s_waitcnt lgkmcnt(0)
	s_cselect_b32 s5, s9, s6
	s_lshl_b32 s49, s15, 9
	s_xor_b32 s5, s5, s7
	v_or_b32_e32 v1, s49, v11
	s_sub_i32 s50, s5, s7
	s_barrier
	s_mul_i32 s6, s50, s4
	s_mul_i32 s4, s50, s16
	s_sub_i32 s46, s14, s6
	s_ashr_i32 s5, s4, 31
	v_ashrrev_i32_e32 v2, 31, v1
	s_lshl_b64 s[34:35], s[4:5], 2
	s_mul_i32 s4, s46, s17
	s_add_u32 s6, s36, s34
	s_addc_u32 s7, s37, s35
	s_ashr_i32 s5, s4, 31
	v_lshlrev_b64 v[13:14], 2, v[1:2]
	s_lshl_b64 s[36:37], s[4:5], 2
	buffer_gl0_inv
	s_add_u32 s4, s6, s36
	s_addc_u32 s5, s7, s37
	s_add_u32 s6, s38, s34
	s_addc_u32 s7, s39, s35
	;; [unrolled: 2-line block ×3, first 2 shown]
	v_add_co_u32 v1, vcc_lo, s6, v13
	v_add_co_ci_u32_e32 v2, vcc_lo, s7, v14, vcc_lo
	v_add_co_u32 v5, vcc_lo, s4, v13
	v_add_co_ci_u32_e32 v6, vcc_lo, s5, v14, vcc_lo
	global_load_b128 v[1:4], v[1:2], off
	s_ashr_i32 s47, s46, 31
	v_mbcnt_lo_u32_b32 v15, -1, 0
	global_load_b128 v[5:8], v[5:6], off
	s_lshl_b64 s[38:39], s[46:47], 2
	v_or_b32_e32 v16, 31, v0
	s_add_u32 s2, s2, s38
	s_addc_u32 s3, s3, s39
	v_lshrrev_b32_e32 v17, 2, v0
	s_load_b32 s5, s[2:3], 0x0
	v_lshlrev_b32_e32 v12, 4, v0
	v_and_b32_e32 v19, 3, v15
	s_mul_i32 s51, s14, s33
	v_cmp_eq_u32_e64 s4, v16, v0
	v_and_b32_e32 v17, 24, v17
	ds_load_b64 v[9:10], v22 offset:36960
	s_mul_i32 s18, s50, s18
	s_mul_i32 s50, s50, s44
	v_cmp_gt_u32_e64 s2, 4, v0
	v_cmp_lt_u32_e64 s3, 31, v0
	v_lshl_add_u32 v23, v0, 3, 0
	s_waitcnt vmcnt(1) lgkmcnt(0)
	v_dual_add_f32 v2, s5, v2 :: v_dual_add_f32 v1, s5, v1
	v_dual_add_f32 v3, s5, v3 :: v_dual_add_nc_u32 v24, 0, v12
	v_add_f32_e32 v4, s5, v4
	v_and_b32_e32 v18, 16, v15
	v_add3_u32 v25, 0, 32, v12
	v_add3_u32 v26, 0, 0x820, v12
	s_delay_alu instid0(VALU_DEP_4) | instskip(NEXT) | instid1(VALU_DEP_4)
	v_dual_mul_f32 v28, 0x3fb8aa3b, v3 :: v_dual_mul_f32 v29, 0x3fb8aa3b, v4
	v_cmp_ne_u32_e64 s10, 0, v18
	v_dual_mul_f32 v21, 0x3fb8aa3b, v2 :: v_dual_and_b32 v12, 15, v15
	s_delay_alu instid0(VALU_DEP_3) | instskip(SKIP_2) | instid1(VALU_DEP_2)
	v_exp_f32_e32 v28, v28
	v_cmp_eq_u32_e64 s5, 0, v15
	v_exp_f32_e32 v29, v29
	v_cmp_ne_u32_e64 s6, 0, v12
	v_exp_f32_e32 v21, v21
	v_cmp_lt_u32_e64 s7, 1, v12
	v_cmp_lt_u32_e64 s8, 3, v12
	;; [unrolled: 1-line block ×3, first 2 shown]
	v_add_nc_u32_e32 v27, 0x820, v24
	v_cmp_ne_u32_e64 s11, 0, v19
	v_add_f32_e32 v18, 1.0, v28
	v_add_nc_u32_e32 v28, 0, v17
	v_cmp_lt_u32_e64 s12, 1, v19
	s_delay_alu instid0(VALU_DEP_3) | instskip(NEXT) | instid1(VALU_DEP_1)
	v_cmp_gt_f32_e64 s14, 0x800000, v18
	v_cndmask_b32_e64 v30, 1.0, 0x4f800000, s14
	v_add_nc_u32_e32 v16, -1, v15
	v_cndmask_b32_e64 v34, 0, 0x41b17218, s14
	s_mul_i32 s14, s46, s45
	s_delay_alu instid0(VALU_DEP_3) | instskip(NEXT) | instid1(VALU_DEP_3)
	v_mul_f32_e32 v17, v18, v30
	v_cmp_gt_i32_e32 vcc_lo, 0, v16
	v_mul_f32_e32 v20, 0x3fb8aa3b, v1
	s_delay_alu instid0(VALU_DEP_3) | instskip(SKIP_1) | instid1(VALU_DEP_2)
	v_log_f32_e32 v17, v17
	v_cndmask_b32_e32 v15, v16, v15, vcc_lo
	v_exp_f32_e32 v20, v20
	v_add_f32_e32 v16, 1.0, v21
	s_delay_alu instid0(VALU_DEP_1)
	v_cmp_gt_f32_e64 s13, 0x800000, v16
	s_waitcnt_depctr 0xfff
	v_add_f32_e32 v12, 1.0, v20
	v_add_f32_e32 v20, 1.0, v29
	v_cndmask_b32_e64 v29, 1.0, 0x4f800000, s13
	v_cndmask_b32_e64 v33, 0, 0x41b17218, s13
	v_cmp_eq_u32_e64 s13, v0, v9
	v_cmp_gt_f32_e32 vcc_lo, 0x800000, v12
	v_cndmask_b32_e64 v21, 1.0, 0x4f800000, vcc_lo
	s_delay_alu instid0(VALU_DEP_1) | instskip(SKIP_1) | instid1(VALU_DEP_2)
	v_mul_f32_e32 v12, v12, v21
	v_mul_f32_e32 v21, 0x3f317217, v17
	v_log_f32_e32 v12, v12
	s_delay_alu instid0(VALU_DEP_1) | instskip(NEXT) | instid1(VALU_DEP_1)
	v_fma_f32 v21, 0x3f317217, v17, -v21
	v_dual_fmac_f32 v21, 0x3377d1cf, v17 :: v_dual_lshlrev_b32 v30, 2, v15
	v_cndmask_b32_e64 v15, 0, 0x41b17218, vcc_lo
	s_waitcnt_depctr 0xfff
	v_mul_f32_e32 v19, 0x3f317217, v12
	v_fmac_f32_e32 v21, 0x3f317217, v17
	v_cmp_gt_f32_e64 vcc_lo, 0x7f800000, |v12|
	s_delay_alu instid0(VALU_DEP_3) | instskip(SKIP_2) | instid1(VALU_DEP_3)
	v_fma_f32 v19, 0x3f317217, v12, -v19
	v_dual_mul_f32 v16, v16, v29 :: v_dual_add_nc_u32 v29, 0x1020, v24
	v_cmp_gt_f32_e64 s16, 0x800000, v20
	v_fmac_f32_e32 v19, 0x3377d1cf, v12
	s_delay_alu instid0(VALU_DEP_3) | instskip(NEXT) | instid1(VALU_DEP_2)
	v_log_f32_e32 v16, v16
	v_cndmask_b32_e64 v31, 1.0, 0x4f800000, s16
	v_cndmask_b32_e64 v35, 0, 0x41b17218, s16
	s_delay_alu instid0(VALU_DEP_3) | instskip(SKIP_3) | instid1(VALU_DEP_2)
	v_fmac_f32_e32 v19, 0x3f317217, v12
	s_add_u32 s16, s30, s38
	s_addc_u32 s17, s31, s39
	v_dual_mul_f32 v18, v20, v31 :: v_dual_add_nc_u32 v31, -8, v28
	v_cndmask_b32_e32 v12, v12, v19, vcc_lo
	s_waitcnt_depctr 0xfff
	v_mul_f32_e32 v20, 0x3f317217, v16
	v_cmp_gt_f32_e64 vcc_lo, 0x7f800000, |v16|
	v_log_f32_e32 v18, v18
	v_sub_f32_e32 v12, v12, v15
	s_delay_alu instid0(VALU_DEP_3) | instskip(NEXT) | instid1(VALU_DEP_1)
	v_fma_f32 v20, 0x3f317217, v16, -v20
	v_fmac_f32_e32 v20, 0x3377d1cf, v16
	s_waitcnt_depctr 0xfff
	v_mul_f32_e32 v32, 0x3f317217, v18
	v_fmac_f32_e32 v20, 0x3f317217, v16
	s_delay_alu instid0(VALU_DEP_2) | instskip(NEXT) | instid1(VALU_DEP_2)
	v_fma_f32 v32, 0x3f317217, v18, -v32
	v_cndmask_b32_e32 v16, v16, v20, vcc_lo
	v_cmp_gt_f32_e64 vcc_lo, 0x7f800000, |v17|
	s_delay_alu instid0(VALU_DEP_2) | instskip(SKIP_2) | instid1(VALU_DEP_2)
	v_sub_f32_e32 v15, v16, v33
	v_cndmask_b32_e32 v17, v17, v21, vcc_lo
	v_cmp_gt_f32_e64 vcc_lo, 0x7f800000, |v18|
	v_sub_f32_e32 v16, v17, v34
	v_fmac_f32_e32 v32, 0x3377d1cf, v18
	s_delay_alu instid0(VALU_DEP_1) | instskip(NEXT) | instid1(VALU_DEP_1)
	v_fmac_f32_e32 v32, 0x3f317217, v18
	v_cndmask_b32_e32 v18, v18, v32, vcc_lo
	v_cmp_lt_f32_e32 vcc_lo, 0x41a00000, v1
	s_delay_alu instid0(VALU_DEP_2)
	v_sub_f32_e32 v17, v18, v35
	v_cndmask_b32_e32 v1, v12, v1, vcc_lo
	v_cmp_lt_f32_e32 vcc_lo, 0x41a00000, v2
	v_cndmask_b32_e32 v2, v15, v2, vcc_lo
	v_cmp_lt_f32_e32 vcc_lo, 0x41a00000, v3
	v_add3_u32 v15, s18, s49, v11
	v_cndmask_b32_e32 v3, v16, v3, vcc_lo
	v_cmp_lt_f32_e32 vcc_lo, 0x41a00000, v4
	v_cndmask_b32_e32 v4, v17, v4, vcc_lo
	s_waitcnt vmcnt(0)
	ds_store_2addr_b32 v24, v5, v6 offset0:8 offset1:9
	ds_store_2addr_b32 v25, v7, v8 offset0:2 offset1:3
	ds_store_2addr_b32 v27, v1, v2 offset1:1
	ds_store_2addr_b32 v26, v3, v4 offset0:2 offset1:3
	s_waitcnt lgkmcnt(0)
	s_barrier
	buffer_gl0_inv
	s_load_b32 s30, s[16:17], 0x0
	ds_load_2addr_b32 v[1:2], v24 offset0:8 offset1:9
	ds_load_2addr_b32 v[3:4], v25 offset0:2 offset1:3
	s_lshl_b32 s16, s46, 3
	s_cmp_lg_u32 s15, 0
	v_lshlrev_b32_e32 v5, 3, v10
	s_cselect_b32 s18, -1, 0
	s_add_i32 s14, s14, s50
	s_ashr_i32 s44, s15, 31
	s_add_u32 s45, s24, -4
	s_addc_u32 s46, s25, -1
	s_add_u32 s47, s26, -4
	s_addc_u32 s49, s27, -1
	s_ashr_i32 s17, s16, 31
	v_add_nc_u32_e32 v32, 0, v5
	s_lshl_b64 s[16:17], s[16:17], 2
	s_lshl_b32 s50, s51, 3
	s_add_u32 s16, s40, s16
	s_addc_u32 s17, s41, s17
	s_add_i32 s40, 0, 0x9020
	s_waitcnt lgkmcnt(0)
	v_dual_mul_f32 v1, s30, v1 :: v_dual_mul_f32 v2, s30, v2
	v_dual_mul_f32 v3, s30, v3 :: v_dual_mul_f32 v4, s30, v4
	s_mov_b32 s30, s14
	s_branch .LBB5_4
.LBB5_3:                                ;   in Loop: Header=BB5_4 Depth=1
	s_or_b32 exec_lo, exec_lo, s31
	s_waitcnt vmcnt(1)
	v_fma_f32 v9, v17, v9, v10
	v_fmac_f32_e32 v12, v17, v11
	s_waitcnt vmcnt(0)
	v_fma_f32 v5, v17, v5, v6
	v_fmac_f32_e32 v8, v17, v7
	s_add_i32 s40, s40, 4
	s_waitcnt lgkmcnt(1)
	v_dual_fmac_f32 v1, v20, v9 :: v_dual_fmac_f32 v2, v21, v12
	v_add_nc_u32_e32 v15, s19, v15
	s_waitcnt lgkmcnt(0)
	v_dual_fmac_f32 v3, v18, v5 :: v_dual_fmac_f32 v4, v19, v8
	s_addk_i32 s48, 0x800
	s_add_i32 s30, s30, 1
	s_add_i32 s50, s50, s33
	s_add_u32 s16, s16, 4
	s_addc_u32 s17, s17, 0
	s_cmpk_eq_i32 s48, 0x4000
	s_waitcnt_vscnt null, 0x0
	s_barrier
	buffer_gl0_inv
	s_cbranch_scc1 .LBB5_32
.LBB5_4:                                ; =>This Inner Loop Header: Depth=1
	s_and_saveexec_b32 s41, s1
	s_cbranch_execz .LBB5_9
; %bb.5:                                ;   in Loop: Header=BB5_4 Depth=1
	s_and_b32 vcc_lo, exec_lo, s18
	s_cbranch_vccz .LBB5_31
; %bb.6:                                ;   in Loop: Header=BB5_4 Depth=1
	s_ashr_i32 s31, s50, 31
	s_add_u32 s38, s15, s50
	s_addc_u32 s39, s44, s31
	s_delay_alu instid0(SALU_CYCLE_1) | instskip(NEXT) | instid1(SALU_CYCLE_1)
	s_lshl_b64 s[38:39], s[38:39], 2
	s_add_u32 s52, s45, s38
	s_addc_u32 s53, s46, s39
	s_add_u32 s38, s47, s38
	global_load_b32 v5, v22, s[52:53]
	s_addc_u32 s39, s49, s39
	s_cbranch_execnz .LBB5_8
.LBB5_7:                                ;   in Loop: Header=BB5_4 Depth=1
	s_ashr_i32 s31, s30, 31
	s_waitcnt vmcnt(0)
	v_mov_b32_e32 v5, 1.0
	s_lshl_b64 s[38:39], s[30:31], 2
	s_delay_alu instid0(SALU_CYCLE_1)
	s_add_u32 s38, s20, s38
	s_addc_u32 s39, s21, s39
.LBB5_8:                                ;   in Loop: Header=BB5_4 Depth=1
	global_load_b32 v6, v22, s[38:39]
	v_mov_b32_e32 v7, s40
	s_waitcnt vmcnt(0)
	ds_store_2addr_b32 v7, v5, v6 offset1:8
.LBB5_9:                                ;   in Loop: Header=BB5_4 Depth=1
	s_or_b32 exec_lo, exec_lo, s41
	v_ashrrev_i32_e32 v16, 31, v15
	v_mov_b32_e32 v37, s40
	s_delay_alu instid0(VALU_DEP_2) | instskip(SKIP_1) | instid1(VALU_DEP_1)
	v_lshlrev_b64 v[5:6], 2, v[15:16]
	v_add_nc_u32_e32 v16, s48, v29
	v_add_nc_u32_e32 v20, 0x4000, v16
	s_delay_alu instid0(VALU_DEP_3) | instskip(NEXT) | instid1(VALU_DEP_4)
	v_add_co_u32 v7, vcc_lo, s42, v5
	v_add_co_ci_u32_e32 v8, vcc_lo, s43, v6, vcc_lo
	v_add_co_u32 v9, vcc_lo, s28, v5
	v_add_co_ci_u32_e32 v10, vcc_lo, s29, v6, vcc_lo
	global_load_b128 v[5:8], v[7:8], off
	global_load_b128 v[9:12], v[9:10], off
	v_add_nc_u32_e32 v33, 0x4008, v16
	s_waitcnt vmcnt(1)
	ds_store_2addr_b32 v16, v5, v6 offset1:1
	ds_store_2addr_b32 v16, v7, v8 offset0:2 offset1:3
	s_waitcnt vmcnt(0)
	ds_store_2addr_b32 v20, v9, v10 offset1:1
	ds_store_2addr_b32 v33, v11, v12 offset1:1
	s_waitcnt lgkmcnt(0)
	s_barrier
	buffer_gl0_inv
	global_load_b32 v21, v22, s[16:17]
	ds_load_2addr_b32 v[5:6], v27 offset1:1
	ds_load_2addr_b32 v[7:8], v26 offset0:2 offset1:3
	ds_load_2addr_b32 v[9:10], v16 offset1:1
	ds_load_2addr_b32 v[11:12], v16 offset0:2 offset1:3
	ds_load_2addr_b32 v[16:17], v24 offset0:8 offset1:9
	;; [unrolled: 1-line block ×3, first 2 shown]
	s_waitcnt lgkmcnt(3)
	v_dual_mul_f32 v10, v6, v10 :: v_dual_mul_f32 v9, v5, v9
	s_waitcnt vmcnt(0)
	v_mul_f32_e32 v34, v5, v21
	v_mul_f32_e32 v35, v6, v21
	;; [unrolled: 1-line block ×3, first 2 shown]
	s_waitcnt lgkmcnt(1)
	v_dual_mul_f32 v7, v7, v11 :: v_dual_mul_f32 v6, v16, v9
	s_delay_alu instid0(VALU_DEP_3) | instskip(NEXT) | instid1(VALU_DEP_3)
	v_dual_mul_f32 v34, 0x3fb8aa3b, v34 :: v_dual_mul_f32 v35, 0x3fb8aa3b, v35
	v_dual_mul_f32 v21, v8, v21 :: v_dual_mul_f32 v38, 0x3fb8aa3b, v36
	s_delay_alu instid0(VALU_DEP_2) | instskip(NEXT) | instid1(VALU_DEP_2)
	v_exp_f32_e32 v5, v34
	v_exp_f32_e32 v36, v35
	s_delay_alu instid0(VALU_DEP_1) | instskip(NEXT) | instid1(VALU_DEP_2)
	v_mul_f32_e32 v9, 0x3fb8aa3b, v21
	v_exp_f32_e32 v38, v38
	v_dual_mul_f32 v21, v17, v10 :: v_dual_mul_f32 v10, v8, v12
	s_waitcnt lgkmcnt(0)
	v_mul_f32_e32 v34, v18, v7
	v_exp_f32_e32 v35, v9
	ds_load_2addr_b32 v[16:17], v37 offset1:8
	v_mul_f32_e32 v37, v19, v10
	v_mul_f32_e32 v7, v5, v36
	v_fma_f32 v8, v6, v36, v21
	s_delay_alu instid0(VALU_DEP_2) | instskip(NEXT) | instid1(VALU_DEP_2)
	v_mul_f32_e32 v9, v7, v38
	v_fma_f32 v10, v8, v38, v34
	s_delay_alu instid0(VALU_DEP_2) | instskip(NEXT) | instid1(VALU_DEP_2)
	;; [unrolled: 3-line block ×3, first 2 shown]
	v_mov_b32_dpp v41, v11 row_shr:1 row_mask:0xf bank_mask:0xf
	v_mov_b32_dpp v42, v12 row_shr:1 row_mask:0xf bank_mask:0xf
	v_dual_mov_b32 v39, v12 :: v_dual_mov_b32 v40, v11
	v_dual_mov_b32 v18, v11 :: v_dual_mov_b32 v19, v12
	s_and_saveexec_b32 s31, s6
; %bb.10:                               ;   in Loop: Header=BB5_4 Depth=1
	v_dual_mov_b32 v39, v12 :: v_dual_mul_f32 v40, v11, v41
	s_delay_alu instid0(VALU_DEP_1) | instskip(NEXT) | instid1(VALU_DEP_1)
	v_dual_fmac_f32 v39, v11, v42 :: v_dual_mov_b32 v18, v40
	v_mov_b32_e32 v19, v39
; %bb.11:                               ;   in Loop: Header=BB5_4 Depth=1
	s_or_b32 exec_lo, exec_lo, s31
	s_delay_alu instid0(VALU_DEP_2) | instskip(NEXT) | instid1(VALU_DEP_2)
	v_mov_b32_dpp v41, v18 row_shr:2 row_mask:0xf bank_mask:0xf
	v_mov_b32_dpp v42, v19 row_shr:2 row_mask:0xf bank_mask:0xf
	s_and_saveexec_b32 s31, s7
; %bb.12:                               ;   in Loop: Header=BB5_4 Depth=1
	s_delay_alu instid0(VALU_DEP_2) | instskip(NEXT) | instid1(VALU_DEP_1)
	v_mul_f32_e32 v18, v40, v41
	v_dual_fmac_f32 v39, v40, v42 :: v_dual_mov_b32 v40, v18
	s_delay_alu instid0(VALU_DEP_1)
	v_mov_b32_e32 v19, v39
; %bb.13:                               ;   in Loop: Header=BB5_4 Depth=1
	s_or_b32 exec_lo, exec_lo, s31
	v_mov_b32_dpp v41, v18 row_shr:4 row_mask:0xf bank_mask:0xf
	s_delay_alu instid0(VALU_DEP_2)
	v_mov_b32_dpp v42, v19 row_shr:4 row_mask:0xf bank_mask:0xf
	s_and_saveexec_b32 s31, s8
; %bb.14:                               ;   in Loop: Header=BB5_4 Depth=1
	s_delay_alu instid0(VALU_DEP_2) | instskip(NEXT) | instid1(VALU_DEP_1)
	v_mul_f32_e32 v18, v40, v41
	v_dual_fmac_f32 v39, v40, v42 :: v_dual_mov_b32 v40, v18
	s_delay_alu instid0(VALU_DEP_1)
	v_mov_b32_e32 v19, v39
; %bb.15:                               ;   in Loop: Header=BB5_4 Depth=1
	s_or_b32 exec_lo, exec_lo, s31
	v_mov_b32_dpp v41, v18 row_shr:8 row_mask:0xf bank_mask:0xf
	s_delay_alu instid0(VALU_DEP_2)
	v_mov_b32_dpp v42, v19 row_shr:8 row_mask:0xf bank_mask:0xf
	s_and_saveexec_b32 s31, s9
; %bb.16:                               ;   in Loop: Header=BB5_4 Depth=1
	s_delay_alu instid0(VALU_DEP_2) | instskip(NEXT) | instid1(VALU_DEP_1)
	v_mul_f32_e32 v18, v40, v41
	v_dual_fmac_f32 v39, v40, v42 :: v_dual_mov_b32 v40, v18
	s_delay_alu instid0(VALU_DEP_1)
	v_mov_b32_e32 v19, v39
; %bb.17:                               ;   in Loop: Header=BB5_4 Depth=1
	s_or_b32 exec_lo, exec_lo, s31
	ds_swizzle_b32 v41, v18 offset:swizzle(BROADCAST,32,15)
	ds_swizzle_b32 v42, v19 offset:swizzle(BROADCAST,32,15)
	s_and_saveexec_b32 s31, s10
	s_cbranch_execz .LBB5_19
; %bb.18:                               ;   in Loop: Header=BB5_4 Depth=1
	s_waitcnt lgkmcnt(0)
	v_fmac_f32_e32 v39, v40, v42
	s_delay_alu instid0(VALU_DEP_1) | instskip(NEXT) | instid1(VALU_DEP_1)
	v_dual_mul_f32 v40, v40, v41 :: v_dual_mov_b32 v19, v39
	v_mov_b32_e32 v18, v40
.LBB5_19:                               ;   in Loop: Header=BB5_4 Depth=1
	s_or_b32 exec_lo, exec_lo, s31
	s_and_saveexec_b32 s31, s4
	s_cbranch_execz .LBB5_21
; %bb.20:                               ;   in Loop: Header=BB5_4 Depth=1
	ds_store_2addr_b32 v28, v18, v19 offset1:1
.LBB5_21:                               ;   in Loop: Header=BB5_4 Depth=1
	s_or_b32 exec_lo, exec_lo, s31
	s_waitcnt lgkmcnt(0)
	s_barrier
	buffer_gl0_inv
	s_and_saveexec_b32 s31, s2
	s_cbranch_execz .LBB5_25
; %bb.22:                               ;   in Loop: Header=BB5_4 Depth=1
	ds_load_2addr_b32 v[18:19], v23 offset1:1
	s_waitcnt lgkmcnt(0)
	v_mov_b32_dpp v41, v18 row_shr:1 row_mask:0xf bank_mask:0xf
	v_mov_b32_dpp v42, v19 row_shr:1 row_mask:0xf bank_mask:0xf
	s_and_saveexec_b32 s38, s11
; %bb.23:                               ;   in Loop: Header=BB5_4 Depth=1
	s_delay_alu instid0(VALU_DEP_1) | instskip(NEXT) | instid1(VALU_DEP_3)
	v_fma_f32 v19, v18, v42, v19
	v_mul_f32_e32 v18, v18, v41
; %bb.24:                               ;   in Loop: Header=BB5_4 Depth=1
	s_or_b32 exec_lo, exec_lo, s38
	s_delay_alu instid0(VALU_DEP_1) | instskip(NEXT) | instid1(VALU_DEP_3)
	v_mov_b32_dpp v41, v18 row_shr:2 row_mask:0xf bank_mask:0xf
	v_mov_b32_dpp v42, v19 row_shr:2 row_mask:0xf bank_mask:0xf
	s_delay_alu instid0(VALU_DEP_2) | instskip(NEXT) | instid1(VALU_DEP_2)
	v_mul_f32_e32 v41, v18, v41
	v_fma_f32 v42, v18, v42, v19
	s_delay_alu instid0(VALU_DEP_2) | instskip(NEXT) | instid1(VALU_DEP_2)
	v_cndmask_b32_e64 v18, v18, v41, s12
	v_cndmask_b32_e64 v19, v19, v42, s12
	ds_store_2addr_b32 v23, v18, v19 offset1:1
.LBB5_25:                               ;   in Loop: Header=BB5_4 Depth=1
	s_or_b32 exec_lo, exec_lo, s31
	s_waitcnt lgkmcnt(0)
	s_barrier
	buffer_gl0_inv
                                        ; implicit-def: $vgpr19
	s_and_saveexec_b32 s31, s3
	s_cbranch_execz .LBB5_27
; %bb.26:                               ;   in Loop: Header=BB5_4 Depth=1
	ds_load_2addr_b32 v[18:19], v31 offset1:1
	s_waitcnt lgkmcnt(0)
	v_mul_f32_e32 v41, v40, v18
	s_delay_alu instid0(VALU_DEP_1)
	v_dual_fmac_f32 v39, v40, v19 :: v_dual_mov_b32 v40, v41
.LBB5_27:                               ;   in Loop: Header=BB5_4 Depth=1
	s_or_b32 exec_lo, exec_lo, s31
	ds_bpermute_b32 v40, v30, v40
	ds_bpermute_b32 v39, v30, v39
	s_and_saveexec_b32 s31, s0
	s_cbranch_execz .LBB5_29
; %bb.28:                               ;   in Loop: Header=BB5_4 Depth=1
	s_waitcnt lgkmcnt(0)
	v_cndmask_b32_e64 v7, v39, v19, s5
	v_cndmask_b32_e64 v8, v40, v18, s5
	;;#ASMSTART
	;;#ASMEND
	s_delay_alu instid0(VALU_DEP_2) | instskip(NEXT) | instid1(VALU_DEP_2)
	v_fmac_f32_e32 v6, v5, v7
	v_mul_f32_e32 v5, v5, v8
	s_delay_alu instid0(VALU_DEP_1) | instskip(NEXT) | instid1(VALU_DEP_1)
	v_mul_f32_e32 v7, v5, v36
	v_mul_f32_e32 v9, v7, v38
	s_delay_alu instid0(VALU_DEP_4) | instskip(NEXT) | instid1(VALU_DEP_2)
	v_fmac_f32_e32 v21, v6, v36
	v_mul_f32_e32 v11, v9, v35
	s_delay_alu instid0(VALU_DEP_2) | instskip(NEXT) | instid1(VALU_DEP_1)
	v_fmac_f32_e32 v34, v21, v38
	v_fmac_f32_e32 v37, v34, v35
	v_mov_b32_e32 v10, v34
	s_delay_alu instid0(VALU_DEP_2)
	v_mov_b32_e32 v12, v37
	v_mov_b32_e32 v8, v21
.LBB5_29:                               ;   in Loop: Header=BB5_4 Depth=1
	s_or_b32 exec_lo, exec_lo, s31
	s_clause 0x1
	scratch_store_b128 off, v[5:8], off
	scratch_store_b128 off, v[9:12], off offset:16
	s_waitcnt lgkmcnt(0)
	s_waitcnt_vscnt null, 0x0
	s_barrier
	buffer_gl0_inv
	s_clause 0x1
	scratch_load_b128 v[9:12], off, off
	scratch_load_b128 v[5:8], off, off offset:16
	ds_load_2addr_b32 v[20:21], v20 offset1:1
	ds_load_2addr_b32 v[18:19], v33 offset1:1
	s_and_saveexec_b32 s31, s13
	s_cbranch_execz .LBB5_3
; %bb.30:                               ;   in Loop: Header=BB5_4 Depth=1
	scratch_load_b64 v[33:34], v32, off
	s_add_i32 s38, s15, s50
	v_mov_b32_e32 v35, s40
	s_ashr_i32 s39, s38, 31
	s_delay_alu instid0(SALU_CYCLE_1) | instskip(NEXT) | instid1(SALU_CYCLE_1)
	s_lshl_b64 s[38:39], s[38:39], 2
	s_add_u32 s52, s24, s38
	s_addc_u32 s53, s25, s39
	s_add_u32 s38, s26, s38
	s_addc_u32 s39, s27, s39
	s_waitcnt vmcnt(0)
	v_mul_f32_e32 v16, v16, v33
	v_fmac_f32_e32 v34, v17, v33
	s_clause 0x1
	global_store_b32 v22, v16, s[52:53]
	global_store_b32 v22, v34, s[38:39]
	ds_store_2addr_b32 v35, v16, v34 offset1:8
	s_branch .LBB5_3
.LBB5_31:                               ;   in Loop: Header=BB5_4 Depth=1
                                        ; implicit-def: $sgpr38_sgpr39
                                        ; implicit-def: $vgpr5
	s_branch .LBB5_7
.LBB5_32:
	s_add_u32 s0, s22, s34
	s_addc_u32 s1, s23, s35
	s_add_u32 s0, s0, s36
	s_addc_u32 s1, s1, s37
	v_add_co_u32 v5, vcc_lo, s0, v13
	v_add_co_ci_u32_e32 v6, vcc_lo, s1, v14, vcc_lo
	s_add_i32 s33, s33, -1
	v_cmp_gt_u32_e32 vcc_lo, 8, v0
	s_cmp_eq_u32 s15, s33
	global_store_b128 v[5:6], v[1:4], off
	s_cselect_b32 s0, -1, 0
	s_delay_alu instid0(SALU_CYCLE_1) | instskip(NEXT) | instid1(SALU_CYCLE_1)
	s_and_b32 s0, vcc_lo, s0
	s_and_saveexec_b32 s1, s0
	s_cbranch_execz .LBB5_34
; %bb.33:
	v_lshl_add_u32 v1, v0, 2, 0
	v_add_nc_u32_e32 v0, s14, v0
	ds_load_b32 v2, v1 offset:36928
	v_ashrrev_i32_e32 v1, 31, v0
	s_delay_alu instid0(VALU_DEP_1) | instskip(NEXT) | instid1(VALU_DEP_1)
	v_lshlrev_b64 v[0:1], 2, v[0:1]
	v_add_co_u32 v0, vcc_lo, s20, v0
	s_delay_alu instid0(VALU_DEP_2)
	v_add_co_ci_u32_e32 v1, vcc_lo, s21, v1, vcc_lo
	s_waitcnt lgkmcnt(0)
	global_store_b32 v[0:1], v2, off
.LBB5_34:
	s_nop 0
	s_sendmsg sendmsg(MSG_DEALLOC_VGPRS)
	s_endpgm
	.section	.rodata,"a",@progbits
	.p2align	6, 0x0
	.amdhsa_kernel _Z26selective_scan_vllm_kernelI18SSMFwdKernelTraitsILi128ELi4ELi8ELb0ELb1ELb1EEEv13SSMParamsBase
		.amdhsa_group_segment_fixed_size 0
		.amdhsa_private_segment_fixed_size 48
		.amdhsa_kernarg_size 144
		.amdhsa_user_sgpr_count 14
		.amdhsa_user_sgpr_dispatch_ptr 0
		.amdhsa_user_sgpr_queue_ptr 0
		.amdhsa_user_sgpr_kernarg_segment_ptr 1
		.amdhsa_user_sgpr_dispatch_id 0
		.amdhsa_user_sgpr_private_segment_size 0
		.amdhsa_wavefront_size32 1
		.amdhsa_uses_dynamic_stack 0
		.amdhsa_enable_private_segment 1
		.amdhsa_system_sgpr_workgroup_id_x 1
		.amdhsa_system_sgpr_workgroup_id_y 1
		.amdhsa_system_sgpr_workgroup_id_z 0
		.amdhsa_system_sgpr_workgroup_info 0
		.amdhsa_system_vgpr_workitem_id 0
		.amdhsa_next_free_vgpr 43
		.amdhsa_next_free_sgpr 54
		.amdhsa_reserve_vcc 1
		.amdhsa_float_round_mode_32 0
		.amdhsa_float_round_mode_16_64 0
		.amdhsa_float_denorm_mode_32 3
		.amdhsa_float_denorm_mode_16_64 3
		.amdhsa_dx10_clamp 1
		.amdhsa_ieee_mode 1
		.amdhsa_fp16_overflow 0
		.amdhsa_workgroup_processor_mode 1
		.amdhsa_memory_ordered 1
		.amdhsa_forward_progress 0
		.amdhsa_shared_vgpr_count 0
		.amdhsa_exception_fp_ieee_invalid_op 0
		.amdhsa_exception_fp_denorm_src 0
		.amdhsa_exception_fp_ieee_div_zero 0
		.amdhsa_exception_fp_ieee_overflow 0
		.amdhsa_exception_fp_ieee_underflow 0
		.amdhsa_exception_fp_ieee_inexact 0
		.amdhsa_exception_int_div_zero 0
	.end_amdhsa_kernel
	.section	.text._Z26selective_scan_vllm_kernelI18SSMFwdKernelTraitsILi128ELi4ELi8ELb0ELb1ELb1EEEv13SSMParamsBase,"axG",@progbits,_Z26selective_scan_vllm_kernelI18SSMFwdKernelTraitsILi128ELi4ELi8ELb0ELb1ELb1EEEv13SSMParamsBase,comdat
.Lfunc_end5:
	.size	_Z26selective_scan_vllm_kernelI18SSMFwdKernelTraitsILi128ELi4ELi8ELb0ELb1ELb1EEEv13SSMParamsBase, .Lfunc_end5-_Z26selective_scan_vllm_kernelI18SSMFwdKernelTraitsILi128ELi4ELi8ELb0ELb1ELb1EEEv13SSMParamsBase
                                        ; -- End function
	.section	.AMDGPU.csdata,"",@progbits
; Kernel info:
; codeLenInByte = 2980
; NumSgprs: 56
; NumVgprs: 43
; ScratchSize: 48
; MemoryBound: 0
; FloatMode: 240
; IeeeMode: 1
; LDSByteSize: 0 bytes/workgroup (compile time only)
; SGPRBlocks: 6
; VGPRBlocks: 5
; NumSGPRsForWavesPerEU: 56
; NumVGPRsForWavesPerEU: 43
; Occupancy: 16
; WaveLimiterHint : 0
; COMPUTE_PGM_RSRC2:SCRATCH_EN: 1
; COMPUTE_PGM_RSRC2:USER_SGPR: 14
; COMPUTE_PGM_RSRC2:TRAP_HANDLER: 0
; COMPUTE_PGM_RSRC2:TGID_X_EN: 1
; COMPUTE_PGM_RSRC2:TGID_Y_EN: 1
; COMPUTE_PGM_RSRC2:TGID_Z_EN: 0
; COMPUTE_PGM_RSRC2:TIDIG_COMP_CNT: 0
	.section	.text._Z26selective_scan_vllm_kernelI18SSMFwdKernelTraitsILi128ELi4ELi8ELb0ELb1ELb0EEEv13SSMParamsBase,"axG",@progbits,_Z26selective_scan_vllm_kernelI18SSMFwdKernelTraitsILi128ELi4ELi8ELb0ELb1ELb0EEEv13SSMParamsBase,comdat
	.protected	_Z26selective_scan_vllm_kernelI18SSMFwdKernelTraitsILi128ELi4ELi8ELb0ELb1ELb0EEEv13SSMParamsBase ; -- Begin function _Z26selective_scan_vllm_kernelI18SSMFwdKernelTraitsILi128ELi4ELi8ELb0ELb1ELb0EEEv13SSMParamsBase
	.globl	_Z26selective_scan_vllm_kernelI18SSMFwdKernelTraitsILi128ELi4ELi8ELb0ELb1ELb0EEEv13SSMParamsBase
	.p2align	8
	.type	_Z26selective_scan_vllm_kernelI18SSMFwdKernelTraitsILi128ELi4ELi8ELb0ELb1ELb0EEEv13SSMParamsBase,@function
_Z26selective_scan_vllm_kernelI18SSMFwdKernelTraitsILi128ELi4ELi8ELb0ELb1ELb0EEEv13SSMParamsBase: ; @_Z26selective_scan_vllm_kernelI18SSMFwdKernelTraitsILi128ELi4ELi8ELb0ELb1ELb0EEEv13SSMParamsBase
; %bb.0:
	s_clause 0x5
	s_load_b64 s[8:9], s[0:1], 0x4
	s_load_b128 s[36:39], s[0:1], 0x38
	s_load_b64 s[6:7], s[0:1], 0x48
	s_load_b64 s[10:11], s[0:1], 0x88
	s_load_b128 s[40:43], s[0:1], 0x78
	s_load_b256 s[16:23], s[0:1], 0x18
	s_abs_i32 s24, s14
	s_ashr_i32 s13, s14, 31
	s_waitcnt lgkmcnt(0)
	s_abs_i32 s4, s8
	s_ashr_i32 s25, s8, 31
	v_cvt_f32_u32_e32 v1, s4
	s_sub_i32 s2, 0, s4
	s_delay_alu instid0(VALU_DEP_1) | instskip(SKIP_2) | instid1(VALU_DEP_1)
	v_rcp_iflag_f32_e32 v1, v1
	s_waitcnt_depctr 0xfff
	v_mul_f32_e32 v1, 0x4f7ffffe, v1
	v_cvt_u32_f32_e32 v1, v1
	s_delay_alu instid0(VALU_DEP_1) | instskip(NEXT) | instid1(VALU_DEP_1)
	v_readfirstlane_b32 s5, v1
	s_mul_i32 s3, s2, s5
	v_cmp_ne_u32_e64 s2, 0, v0
	s_mul_hi_u32 s12, s5, s3
	v_cmp_eq_u32_e64 s3, 0, v0
	s_add_i32 s5, s5, s12
	s_delay_alu instid0(SALU_CYCLE_1) | instskip(SKIP_1) | instid1(VALU_DEP_1)
	s_mul_hi_u32 s12, s24, s5
	s_lshl_b32 s5, s15, 9
	s_and_saveexec_b32 s26, s3
	s_cbranch_execz .LBB6_2
; %bb.1:
	s_add_i32 s27, s5, 0x200
	s_not_b32 s28, s5
	s_min_i32 s27, s27, s9
	v_mov_b32_e32 v3, 0
	s_add_i32 s27, s27, s28
	s_delay_alu instid0(SALU_CYCLE_1) | instskip(NEXT) | instid1(SALU_CYCLE_1)
	s_ashr_i32 s28, s27, 31
	s_lshr_b32 s28, s28, 30
	s_delay_alu instid0(SALU_CYCLE_1) | instskip(NEXT) | instid1(SALU_CYCLE_1)
	s_add_i32 s28, s27, s28
	s_and_b32 s29, s28, -4
	s_ashr_i32 s28, s28, 2
	s_sub_i32 s27, s27, s29
	s_delay_alu instid0(SALU_CYCLE_1)
	v_dual_mov_b32 v1, s28 :: v_dual_mov_b32 v2, s27
	ds_store_b64 v3, v[1:2] offset:36960
.LBB6_2:
	s_or_b32 exec_lo, exec_lo, s26
	s_mul_i32 s26, s12, s4
	s_xor_b32 s13, s13, s25
	s_sub_i32 s24, s24, s26
	s_add_i32 s25, s12, 1
	s_sub_i32 s26, s24, s4
	s_cmp_ge_u32 s24, s4
	v_dual_mov_b32 v5, 0 :: v_dual_mov_b32 v4, 0
	s_cselect_b32 s12, s25, s12
	s_cselect_b32 s24, s26, s24
	s_add_i32 s25, s12, 1
	s_cmp_ge_u32 s24, s4
	s_waitcnt lgkmcnt(0)
	s_cselect_b32 s4, s25, s12
	s_barrier
	s_xor_b32 s4, s4, s13
	buffer_gl0_inv
	s_sub_i32 s44, s4, s13
	ds_load_b64 v[1:2], v5 offset:36960
	s_mul_i32 s24, s44, s40
	s_mul_i32 s4, s44, s8
	s_ashr_i32 s25, s24, 31
	s_sub_i32 s12, s14, s4
	s_lshl_b64 s[34:35], s[24:25], 2
	v_lshlrev_b32_e32 v3, 2, v0
	s_mul_i32 s24, s12, s41
	s_add_u32 s4, s16, s34
	s_addc_u32 s13, s17, s35
	s_ashr_i32 s25, s24, 31
	v_add_nc_u32_e32 v9, s5, v3
	s_lshl_b64 s[40:41], s[24:25], 2
	s_delay_alu instid0(SALU_CYCLE_1)
	s_add_u32 s8, s4, s40
	s_addc_u32 s24, s13, s41
	s_ashr_i32 s13, s12, 31
	v_cmp_gt_i32_e64 s4, s9, v9
	s_lshl_b64 s[16:17], s[12:13], 2
	v_ashrrev_i32_e32 v10, 31, v9
	s_add_u32 s6, s6, s16
	s_addc_u32 s7, s7, s17
	s_and_saveexec_b32 s5, s4
	s_cbranch_execz .LBB6_4
; %bb.3:
	v_lshlrev_b64 v[6:7], 2, v[9:10]
	s_delay_alu instid0(VALU_DEP_1) | instskip(NEXT) | instid1(VALU_DEP_2)
	v_add_co_u32 v6, vcc_lo, s8, v6
	v_add_co_ci_u32_e32 v7, vcc_lo, s24, v7, vcc_lo
	global_load_b32 v4, v[6:7], off
.LBB6_4:
	s_or_b32 exec_lo, exec_lo, s5
	s_load_b32 s13, s[6:7], 0x0
	s_add_u32 s5, s18, s34
	s_addc_u32 s6, s19, s35
	s_add_u32 s18, s5, s40
	s_addc_u32 s19, s6, s41
	s_and_saveexec_b32 s5, s4
	s_cbranch_execz .LBB6_6
; %bb.5:
	v_lshlrev_b64 v[5:6], 2, v[9:10]
	s_delay_alu instid0(VALU_DEP_1) | instskip(NEXT) | instid1(VALU_DEP_2)
	v_add_co_u32 v5, vcc_lo, s18, v5
	v_add_co_ci_u32_e32 v6, vcc_lo, s19, v6, vcc_lo
	global_load_b32 v5, v[5:6], off
.LBB6_6:
	s_or_b32 exec_lo, exec_lo, s5
	s_waitcnt vmcnt(0) lgkmcnt(0)
	v_add_f32_e32 v5, s13, v5
	v_lshl_add_u32 v17, v3, 2, 0
	s_delay_alu instid0(VALU_DEP_2) | instskip(NEXT) | instid1(VALU_DEP_1)
	v_mul_f32_e32 v6, 0x3fb8aa3b, v5
	v_exp_f32_e32 v6, v6
	s_waitcnt_depctr 0xfff
	v_add_f32_e32 v6, 1.0, v6
	s_delay_alu instid0(VALU_DEP_1) | instskip(SKIP_2) | instid1(VALU_DEP_2)
	v_cmp_gt_f32_e32 vcc_lo, 0x800000, v6
	v_cndmask_b32_e64 v7, 1.0, 0x4f800000, vcc_lo
	v_cndmask_b32_e64 v8, 0, 0x41b17218, vcc_lo
	v_mul_f32_e32 v6, v6, v7
	s_delay_alu instid0(VALU_DEP_1) | instskip(SKIP_3) | instid1(VALU_DEP_2)
	v_log_f32_e32 v6, v6
	s_waitcnt_depctr 0xfff
	v_mul_f32_e32 v7, 0x3f317217, v6
	v_cmp_gt_f32_e64 vcc_lo, 0x7f800000, |v6|
	v_fma_f32 v7, 0x3f317217, v6, -v7
	s_delay_alu instid0(VALU_DEP_1) | instskip(NEXT) | instid1(VALU_DEP_1)
	v_fmamk_f32 v7, v6, 0x3377d1cf, v7
	v_fmac_f32_e32 v7, 0x3f317217, v6
	s_delay_alu instid0(VALU_DEP_1) | instskip(SKIP_2) | instid1(VALU_DEP_3)
	v_cndmask_b32_e32 v6, v6, v7, vcc_lo
	v_or_b32_e32 v7, 1, v9
	v_cmp_lt_f32_e32 vcc_lo, 0x41a00000, v5
	v_sub_f32_e32 v6, v6, v8
	v_add_nc_u32_e32 v8, 32, v17
	s_delay_alu instid0(VALU_DEP_4) | instskip(NEXT) | instid1(VALU_DEP_3)
	v_cmp_gt_i32_e64 s5, s9, v7
	v_dual_cndmask_b32 v7, v6, v5 :: v_dual_mov_b32 v6, 0
	v_mov_b32_e32 v5, 0
	ds_store_2addr_stride64_b32 v8, v4, v7 offset1:8
	s_and_saveexec_b32 s6, s5
	s_cbranch_execz .LBB6_8
; %bb.7:
	v_lshlrev_b64 v[4:5], 2, v[9:10]
	s_delay_alu instid0(VALU_DEP_1) | instskip(NEXT) | instid1(VALU_DEP_2)
	v_add_co_u32 v4, vcc_lo, s8, v4
	v_add_co_ci_u32_e32 v5, vcc_lo, s24, v5, vcc_lo
	global_load_b32 v5, v[4:5], off offset:4
.LBB6_8:
	s_or_b32 exec_lo, exec_lo, s6
	s_and_saveexec_b32 s6, s5
	s_cbranch_execz .LBB6_10
; %bb.9:
	v_lshlrev_b64 v[6:7], 2, v[9:10]
	s_delay_alu instid0(VALU_DEP_1) | instskip(NEXT) | instid1(VALU_DEP_2)
	v_add_co_u32 v6, vcc_lo, s18, v6
	v_add_co_ci_u32_e32 v7, vcc_lo, s19, v7, vcc_lo
	global_load_b32 v6, v[6:7], off offset:4
.LBB6_10:
	s_or_b32 exec_lo, exec_lo, s6
	s_waitcnt vmcnt(0)
	v_dual_add_f32 v4, s13, v6 :: v_dual_lshlrev_b32 v3, 2, v3
	s_delay_alu instid0(VALU_DEP_1) | instskip(NEXT) | instid1(VALU_DEP_2)
	v_mul_f32_e32 v6, 0x3fb8aa3b, v4
	v_add3_u32 v18, 0, 32, v3
	v_add3_u32 v19, 0, 0x820, v3
	v_mov_b32_e32 v3, 0
	s_delay_alu instid0(VALU_DEP_4) | instskip(SKIP_2) | instid1(VALU_DEP_1)
	v_exp_f32_e32 v6, v6
	s_waitcnt_depctr 0xfff
	v_add_f32_e32 v6, 1.0, v6
	v_cmp_gt_f32_e32 vcc_lo, 0x800000, v6
	v_cndmask_b32_e64 v7, 1.0, 0x4f800000, vcc_lo
	v_cndmask_b32_e64 v8, 0, 0x41b17218, vcc_lo
	s_delay_alu instid0(VALU_DEP_2) | instskip(NEXT) | instid1(VALU_DEP_1)
	v_mul_f32_e32 v6, v6, v7
	v_log_f32_e32 v6, v6
	s_waitcnt_depctr 0xfff
	v_mul_f32_e32 v7, 0x3f317217, v6
	v_cmp_gt_f32_e64 vcc_lo, 0x7f800000, |v6|
	s_delay_alu instid0(VALU_DEP_2) | instskip(NEXT) | instid1(VALU_DEP_1)
	v_fma_f32 v7, 0x3f317217, v6, -v7
	v_fmamk_f32 v7, v6, 0x3377d1cf, v7
	s_delay_alu instid0(VALU_DEP_1) | instskip(NEXT) | instid1(VALU_DEP_1)
	v_fmac_f32_e32 v7, 0x3f317217, v6
	v_cndmask_b32_e32 v6, v6, v7, vcc_lo
	v_or_b32_e32 v7, 2, v9
	v_cmp_lt_f32_e32 vcc_lo, 0x41a00000, v4
	s_delay_alu instid0(VALU_DEP_3) | instskip(NEXT) | instid1(VALU_DEP_3)
	v_sub_f32_e32 v6, v6, v8
	v_cmp_gt_i32_e64 s6, s9, v7
	s_delay_alu instid0(VALU_DEP_2)
	v_cndmask_b32_e32 v6, v6, v4, vcc_lo
	v_mov_b32_e32 v4, 0
	ds_store_b32 v18, v5 offset:4
	ds_store_b32 v19, v6 offset:4
	s_and_saveexec_b32 s7, s6
	s_cbranch_execz .LBB6_12
; %bb.11:
	v_lshlrev_b64 v[4:5], 2, v[9:10]
	s_delay_alu instid0(VALU_DEP_1) | instskip(NEXT) | instid1(VALU_DEP_2)
	v_add_co_u32 v4, vcc_lo, s8, v4
	v_add_co_ci_u32_e32 v5, vcc_lo, s24, v5, vcc_lo
	global_load_b32 v4, v[4:5], off offset:8
.LBB6_12:
	s_or_b32 exec_lo, exec_lo, s7
	s_and_saveexec_b32 s7, s6
	s_cbranch_execz .LBB6_14
; %bb.13:
	v_lshlrev_b64 v[5:6], 2, v[9:10]
	s_delay_alu instid0(VALU_DEP_1) | instskip(NEXT) | instid1(VALU_DEP_2)
	v_add_co_u32 v5, vcc_lo, s18, v5
	v_add_co_ci_u32_e32 v6, vcc_lo, s19, v6, vcc_lo
	global_load_b32 v3, v[5:6], off offset:8
.LBB6_14:
	s_or_b32 exec_lo, exec_lo, s7
	s_waitcnt vmcnt(0)
	v_add_f32_e32 v3, s13, v3
	s_delay_alu instid0(VALU_DEP_1) | instskip(NEXT) | instid1(VALU_DEP_1)
	v_mul_f32_e32 v5, 0x3fb8aa3b, v3
	v_exp_f32_e32 v5, v5
	s_waitcnt_depctr 0xfff
	v_add_f32_e32 v5, 1.0, v5
	s_delay_alu instid0(VALU_DEP_1) | instskip(SKIP_2) | instid1(VALU_DEP_2)
	v_cmp_gt_f32_e32 vcc_lo, 0x800000, v5
	v_cndmask_b32_e64 v6, 1.0, 0x4f800000, vcc_lo
	v_cndmask_b32_e64 v7, 0, 0x41b17218, vcc_lo
	v_mul_f32_e32 v5, v5, v6
	s_delay_alu instid0(VALU_DEP_1) | instskip(SKIP_4) | instid1(VALU_DEP_3)
	v_log_f32_e32 v5, v5
	s_waitcnt_depctr 0xfff
	v_mul_f32_e32 v6, 0x3f317217, v5
	v_cmp_gt_f32_e64 vcc_lo, 0x7f800000, |v5|
	v_cmp_lt_f32_e64 s7, 0x41a00000, v3
	v_fma_f32 v6, 0x3f317217, v5, -v6
	s_delay_alu instid0(VALU_DEP_1) | instskip(NEXT) | instid1(VALU_DEP_1)
	v_fmamk_f32 v6, v5, 0x3377d1cf, v6
	v_fmac_f32_e32 v6, 0x3f317217, v5
	s_delay_alu instid0(VALU_DEP_1) | instskip(SKIP_1) | instid1(VALU_DEP_2)
	v_cndmask_b32_e32 v5, v5, v6, vcc_lo
	v_or_b32_e32 v6, 3, v9
	v_sub_f32_e32 v5, v5, v7
	s_delay_alu instid0(VALU_DEP_2) | instskip(NEXT) | instid1(VALU_DEP_2)
	v_cmp_le_i32_e32 vcc_lo, s9, v6
	v_cndmask_b32_e64 v5, v5, v3, s7
	v_cmp_gt_i32_e64 s7, s9, v6
	v_mov_b32_e32 v3, 0
	ds_store_b32 v18, v4 offset:8
	ds_store_b32 v19, v5 offset:8
	s_and_saveexec_b32 s9, s7
	s_cbranch_execz .LBB6_16
; %bb.15:
	v_lshlrev_b64 v[3:4], 2, v[9:10]
	s_delay_alu instid0(VALU_DEP_1) | instskip(NEXT) | instid1(VALU_DEP_1)
	v_add_co_u32 v3, s8, s8, v3
	v_add_co_ci_u32_e64 v4, s8, s24, v4, s8
	global_load_b32 v3, v[3:4], off offset:12
.LBB6_16:
	s_or_b32 exec_lo, exec_lo, s9
                                        ; implicit-def: $sgpr9
	s_and_saveexec_b32 s8, vcc_lo
	s_delay_alu instid0(SALU_CYCLE_1)
	s_xor_b32 s8, exec_lo, s8
; %bb.17:
	s_mov_b32 s9, 0
; %bb.18:
	s_or_saveexec_b32 s8, s8
	s_clause 0x1
	s_load_b32 s33, s[0:1], 0x10
	s_load_b256 s[24:31], s[0:1], 0x58
	v_mov_b32_e32 v4, s9
	s_xor_b32 exec_lo, exec_lo, s8
	s_cbranch_execz .LBB6_20
; %bb.19:
	v_lshlrev_b64 v[4:5], 2, v[9:10]
	s_delay_alu instid0(VALU_DEP_1) | instskip(NEXT) | instid1(VALU_DEP_2)
	v_add_co_u32 v4, vcc_lo, s18, v4
	v_add_co_ci_u32_e32 v5, vcc_lo, s19, v5, vcc_lo
	global_load_b32 v4, v[4:5], off offset:12
.LBB6_20:
	s_or_b32 exec_lo, exec_lo, s8
	s_waitcnt vmcnt(0)
	v_add_f32_e32 v4, s13, v4
	v_mbcnt_lo_u32_b32 v7, -1, 0
	v_cmp_eq_u32_e64 s8, v0, v1
	v_lshlrev_b32_e32 v1, 3, v2
	s_add_u32 s18, s38, s16
	s_delay_alu instid0(VALU_DEP_3) | instskip(SKIP_1) | instid1(VALU_DEP_2)
	v_dual_mul_f32 v5, 0x3fb8aa3b, v4 :: v_dual_and_b32 v12, 15, v7
	s_addc_u32 s19, s39, s17
	v_add_nc_u32_e32 v23, 0, v1
	s_lshl_b32 s38, s12, 3
	s_delay_alu instid0(VALU_DEP_2)
	v_exp_f32_e32 v5, v5
	s_mul_i32 s47, s44, s42
	s_mul_i32 s44, s44, s10
	;; [unrolled: 1-line block ×3, first 2 shown]
	s_cmp_lg_u32 s15, 0
	v_or_b32_e32 v8, 31, v0
	s_cselect_b32 s48, -1, 0
	s_add_i32 s42, s42, s44
	s_ashr_i32 s49, s15, 31
	s_waitcnt lgkmcnt(0)
	s_add_u32 s50, s28, -4
	s_waitcnt_depctr 0xfff
	v_add_f32_e32 v5, 1.0, v5
	s_addc_u32 s51, s29, -1
	v_mov_b32_e32 v21, 0
	v_cmp_eq_u32_e64 s9, v8, v0
	v_add_nc_u32_e32 v8, -1, v7
	v_cmp_gt_f32_e32 vcc_lo, 0x800000, v5
	s_add_u32 s52, s30, -4
	s_addc_u32 s53, s31, -1
	s_add_u32 s54, s22, 4
	s_mul_i32 s45, s14, s33
	v_cndmask_b32_e64 v6, 1.0, 0x4f800000, vcc_lo
	v_cndmask_b32_e64 v1, 0, 0x41b17218, vcc_lo
	v_cmp_gt_u32_e64 s0, 4, v0
	v_cmp_lt_u32_e64 s1, 31, v0
	v_lshl_add_u32 v20, v0, 3, 0
	v_dual_mul_f32 v5, v5, v6 :: v_dual_lshlrev_b32 v2, 4, v0
	v_lshrrev_b32_e32 v6, 2, v0
	v_cmp_eq_u32_e64 s10, 0, v7
	v_cmp_ne_u32_e64 s11, 0, v12
	s_delay_alu instid0(VALU_DEP_4)
	v_log_f32_e32 v5, v5
	v_add3_u32 v24, v2, 0, 0x1020
	v_cmp_lt_u32_e64 s12, 1, v12
	v_cmp_lt_u32_e64 s13, 3, v12
	;; [unrolled: 1-line block ×3, first 2 shown]
	v_add_nc_u32_e32 v31, 0x820, v17
	s_mov_b32 s46, 0
	s_waitcnt_depctr 0xfff
	v_dual_mul_f32 v11, 0x3f317217, v5 :: v_dual_and_b32 v6, 24, v6
	v_cmp_gt_f32_e64 vcc_lo, 0x7f800000, |v5|
	s_delay_alu instid0(VALU_DEP_2) | instskip(NEXT) | instid1(VALU_DEP_3)
	v_add_nc_u32_e32 v27, 0, v6
	v_fma_f32 v11, 0x3f317217, v5, -v11
	v_and_b32_e32 v14, 3, v7
	s_delay_alu instid0(VALU_DEP_2) | instskip(NEXT) | instid1(VALU_DEP_2)
	v_dual_fmamk_f32 v11, v5, 0x3377d1cf, v11 :: v_dual_add_nc_u32 v30, -8, v27
	v_cmp_ne_u32_e64 s17, 0, v14
	s_delay_alu instid0(VALU_DEP_2) | instskip(NEXT) | instid1(VALU_DEP_1)
	v_fmac_f32_e32 v11, 0x3f317217, v5
	v_cndmask_b32_e32 v2, v5, v11, vcc_lo
	v_cmp_lt_f32_e32 vcc_lo, 0x41a00000, v4
	s_delay_alu instid0(VALU_DEP_2) | instskip(NEXT) | instid1(VALU_DEP_1)
	v_sub_f32_e32 v1, v2, v1
	v_cndmask_b32_e32 v1, v1, v4, vcc_lo
	v_cmp_gt_i32_e32 vcc_lo, 0, v8
	ds_store_b32 v18, v3 offset:12
	ds_store_b32 v19, v1 offset:12
	s_waitcnt lgkmcnt(0)
	s_barrier
	buffer_gl0_inv
	s_load_b32 s44, s[18:19], 0x0
	ds_load_2addr_b32 v[1:2], v17 offset0:8 offset1:9
	ds_load_2addr_b32 v[3:4], v18 offset0:2 offset1:3
	s_addc_u32 s19, s23, 0
	s_add_u32 s55, s36, 4
	s_addc_u32 s56, s37, 0
	s_add_u32 s57, s22, 8
	;; [unrolled: 2-line block ×3, first 2 shown]
	s_addc_u32 s60, s37, 0
	v_and_b32_e32 v13, 16, v7
	v_cndmask_b32_e32 v5, v8, v7, vcc_lo
	s_add_u32 s61, s22, 12
	s_addc_u32 s62, s23, 0
	s_add_u32 s63, s36, 12
	s_addc_u32 s64, s37, 0
	s_ashr_i32 s39, s38, 31
	v_cmp_lt_u32_e64 s18, 1, v14
	v_lshlrev_b32_e32 v29, 2, v5
	s_lshl_b64 s[38:39], s[38:39], 2
	s_lshl_b32 s65, s45, 3
	s_waitcnt lgkmcnt(0)
	v_mul_f32_e32 v28, s44, v1
	v_cmp_ne_u32_e64 s16, 0, v13
	v_dual_mul_f32 v26, s44, v2 :: v_dual_mul_f32 v25, s44, v3
	v_mul_f32_e32 v22, s44, v4
	s_add_u32 s20, s20, s38
	s_addc_u32 s21, s21, s39
	s_mov_b32 s38, s42
	s_branch .LBB6_22
.LBB6_21:                               ;   in Loop: Header=BB6_22 Depth=1
	s_or_b32 exec_lo, exec_lo, s44
	s_waitcnt vmcnt(1)
	v_fma_f32 v1, v12, v1, v2
	s_waitcnt vmcnt(0)
	v_fma_f32 v2, v12, v5, v6
	v_fmac_f32_e32 v4, v12, v3
	v_fmac_f32_e32 v8, v12, v7
	s_add_i32 s46, s46, 4
	s_waitcnt lgkmcnt(0)
	v_dual_fmac_f32 v28, v15, v1 :: v_dual_fmac_f32 v25, v13, v2
	v_fmac_f32_e32 v26, v16, v4
	v_fmac_f32_e32 v22, v14, v8
	v_add_nc_u32_e32 v24, 0x800, v24
	s_add_i32 s47, s47, s43
	s_add_i32 s38, s38, 1
	;; [unrolled: 1-line block ×3, first 2 shown]
	s_add_u32 s20, s20, 4
	s_addc_u32 s21, s21, 0
	s_cmp_eq_u32 s46, 32
	s_waitcnt_vscnt null, 0x0
	s_barrier
	buffer_gl0_inv
	s_cbranch_scc1 .LBB6_66
.LBB6_22:                               ; =>This Inner Loop Header: Depth=1
	s_and_saveexec_b32 s66, s3
	s_cbranch_execz .LBB6_27
; %bb.23:                               ;   in Loop: Header=BB6_22 Depth=1
	s_and_b32 vcc_lo, exec_lo, s48
	s_cbranch_vccz .LBB6_65
; %bb.24:                               ;   in Loop: Header=BB6_22 Depth=1
	s_ashr_i32 s39, s65, 31
	s_add_u32 s44, s15, s65
	s_addc_u32 s45, s49, s39
	s_delay_alu instid0(SALU_CYCLE_1) | instskip(NEXT) | instid1(SALU_CYCLE_1)
	s_lshl_b64 s[44:45], s[44:45], 2
	s_add_u32 s68, s50, s44
	s_addc_u32 s69, s51, s45
	s_add_u32 s44, s52, s44
	global_load_b32 v1, v21, s[68:69]
	s_addc_u32 s45, s53, s45
	s_cbranch_execnz .LBB6_26
.LBB6_25:                               ;   in Loop: Header=BB6_22 Depth=1
	s_ashr_i32 s39, s38, 31
	s_waitcnt vmcnt(0)
	v_mov_b32_e32 v1, 1.0
	s_lshl_b64 s[44:45], s[38:39], 2
	s_delay_alu instid0(SALU_CYCLE_1)
	s_add_u32 s44, s24, s44
	s_addc_u32 s45, s25, s45
.LBB6_26:                               ;   in Loop: Header=BB6_22 Depth=1
	global_load_b32 v2, v21, s[44:45]
	s_add_i32 s39, s46, 0
	s_delay_alu instid0(SALU_CYCLE_1)
	v_add_nc_u32_e64 v3, 0x9000, s39
	s_waitcnt vmcnt(0)
	ds_store_2addr_b32 v3, v1, v2 offset0:8 offset1:16
.LBB6_27:                               ;   in Loop: Header=BB6_22 Depth=1
	s_or_b32 exec_lo, exec_lo, s66
	v_dual_mov_b32 v4, 0 :: v_dual_add_nc_u32 v1, s47, v9
	v_mov_b32_e32 v3, 0
	s_delay_alu instid0(VALU_DEP_2)
	v_ashrrev_i32_e32 v2, 31, v1
	s_and_saveexec_b32 s39, s4
	s_cbranch_execz .LBB6_29
; %bb.28:                               ;   in Loop: Header=BB6_22 Depth=1
	s_delay_alu instid0(VALU_DEP_1) | instskip(NEXT) | instid1(VALU_DEP_1)
	v_lshlrev_b64 v[4:5], 2, v[1:2]
	v_add_co_u32 v4, vcc_lo, s22, v4
	s_delay_alu instid0(VALU_DEP_2)
	v_add_co_ci_u32_e32 v5, vcc_lo, s23, v5, vcc_lo
	global_load_b32 v4, v[4:5], off
.LBB6_29:                               ;   in Loop: Header=BB6_22 Depth=1
	s_or_b32 exec_lo, exec_lo, s39
	s_waitcnt vmcnt(0)
	ds_store_b32 v24, v4
	s_and_saveexec_b32 s39, s4
	s_cbranch_execz .LBB6_31
; %bb.30:                               ;   in Loop: Header=BB6_22 Depth=1
	v_lshlrev_b64 v[1:2], 2, v[1:2]
	s_delay_alu instid0(VALU_DEP_1) | instskip(NEXT) | instid1(VALU_DEP_2)
	v_add_co_u32 v1, vcc_lo, s36, v1
	v_add_co_ci_u32_e32 v2, vcc_lo, s37, v2, vcc_lo
	global_load_b32 v3, v[1:2], off
.LBB6_31:                               ;   in Loop: Header=BB6_22 Depth=1
	s_or_b32 exec_lo, exec_lo, s39
	v_dual_mov_b32 v1, 0 :: v_dual_mov_b32 v2, 0
	s_waitcnt vmcnt(0)
	ds_store_b32 v24, v3 offset:16384
	s_and_saveexec_b32 s39, s5
	s_cbranch_execz .LBB6_33
; %bb.32:                               ;   in Loop: Header=BB6_22 Depth=1
	s_ashr_i32 s44, s47, 31
	v_add_co_u32 v2, vcc_lo, s47, v9
	v_add_co_ci_u32_e32 v3, vcc_lo, s44, v10, vcc_lo
	s_delay_alu instid0(VALU_DEP_1) | instskip(NEXT) | instid1(VALU_DEP_1)
	v_lshlrev_b64 v[2:3], 2, v[2:3]
	v_add_co_u32 v2, vcc_lo, s54, v2
	s_delay_alu instid0(VALU_DEP_2)
	v_add_co_ci_u32_e32 v3, vcc_lo, s19, v3, vcc_lo
	global_load_b32 v2, v[2:3], off
.LBB6_33:                               ;   in Loop: Header=BB6_22 Depth=1
	s_or_b32 exec_lo, exec_lo, s39
	s_waitcnt vmcnt(0)
	ds_store_b32 v24, v2 offset:4
	s_and_saveexec_b32 s39, s5
	s_cbranch_execz .LBB6_35
; %bb.34:                               ;   in Loop: Header=BB6_22 Depth=1
	s_ashr_i32 s44, s47, 31
	v_add_co_u32 v1, vcc_lo, s47, v9
	v_add_co_ci_u32_e32 v2, vcc_lo, s44, v10, vcc_lo
	s_delay_alu instid0(VALU_DEP_1) | instskip(NEXT) | instid1(VALU_DEP_1)
	v_lshlrev_b64 v[1:2], 2, v[1:2]
	v_add_co_u32 v1, vcc_lo, s55, v1
	s_delay_alu instid0(VALU_DEP_2)
	v_add_co_ci_u32_e32 v2, vcc_lo, s56, v2, vcc_lo
	global_load_b32 v1, v[1:2], off
.LBB6_35:                               ;   in Loop: Header=BB6_22 Depth=1
	s_or_b32 exec_lo, exec_lo, s39
	v_dual_mov_b32 v2, 0 :: v_dual_mov_b32 v3, 0
	s_waitcnt vmcnt(0)
	ds_store_b32 v24, v1 offset:16388
	s_and_saveexec_b32 s39, s6
	s_cbranch_execz .LBB6_37
; %bb.36:                               ;   in Loop: Header=BB6_22 Depth=1
	s_ashr_i32 s44, s47, 31
	v_add_co_u32 v3, vcc_lo, s47, v9
	v_add_co_ci_u32_e32 v4, vcc_lo, s44, v10, vcc_lo
	s_delay_alu instid0(VALU_DEP_1) | instskip(NEXT) | instid1(VALU_DEP_1)
	v_lshlrev_b64 v[3:4], 2, v[3:4]
	v_add_co_u32 v3, vcc_lo, s57, v3
	s_delay_alu instid0(VALU_DEP_2)
	v_add_co_ci_u32_e32 v4, vcc_lo, s58, v4, vcc_lo
	global_load_b32 v3, v[3:4], off
.LBB6_37:                               ;   in Loop: Header=BB6_22 Depth=1
	s_or_b32 exec_lo, exec_lo, s39
	s_waitcnt vmcnt(0)
	ds_store_b32 v24, v3 offset:8
	s_and_saveexec_b32 s39, s6
	s_cbranch_execz .LBB6_39
; %bb.38:                               ;   in Loop: Header=BB6_22 Depth=1
	s_ashr_i32 s44, s47, 31
	v_add_co_u32 v1, vcc_lo, s47, v9
	v_add_co_ci_u32_e32 v2, vcc_lo, s44, v10, vcc_lo
	s_delay_alu instid0(VALU_DEP_1) | instskip(NEXT) | instid1(VALU_DEP_1)
	v_lshlrev_b64 v[1:2], 2, v[1:2]
	v_add_co_u32 v1, vcc_lo, s59, v1
	s_delay_alu instid0(VALU_DEP_2)
	v_add_co_ci_u32_e32 v2, vcc_lo, s60, v2, vcc_lo
	global_load_b32 v2, v[1:2], off
.LBB6_39:                               ;   in Loop: Header=BB6_22 Depth=1
	s_or_b32 exec_lo, exec_lo, s39
	v_mov_b32_e32 v1, 0
	v_mov_b32_e32 v3, 0
	s_waitcnt vmcnt(0)
	ds_store_b32 v24, v2 offset:16392
	s_and_saveexec_b32 s39, s7
	s_cbranch_execz .LBB6_41
; %bb.40:                               ;   in Loop: Header=BB6_22 Depth=1
	s_ashr_i32 s44, s47, 31
	v_add_co_u32 v2, vcc_lo, s47, v9
	v_add_co_ci_u32_e32 v3, vcc_lo, s44, v10, vcc_lo
	s_delay_alu instid0(VALU_DEP_1) | instskip(NEXT) | instid1(VALU_DEP_1)
	v_lshlrev_b64 v[2:3], 2, v[2:3]
	v_add_co_u32 v2, vcc_lo, s61, v2
	s_delay_alu instid0(VALU_DEP_2)
	v_add_co_ci_u32_e32 v3, vcc_lo, s62, v3, vcc_lo
	global_load_b32 v3, v[2:3], off
.LBB6_41:                               ;   in Loop: Header=BB6_22 Depth=1
	s_or_b32 exec_lo, exec_lo, s39
	s_waitcnt vmcnt(0)
	ds_store_b32 v24, v3 offset:12
	s_and_saveexec_b32 s39, s7
	s_cbranch_execz .LBB6_43
; %bb.42:                               ;   in Loop: Header=BB6_22 Depth=1
	s_ashr_i32 s44, s47, 31
	v_add_co_u32 v1, vcc_lo, s47, v9
	v_add_co_ci_u32_e32 v2, vcc_lo, s44, v10, vcc_lo
	s_delay_alu instid0(VALU_DEP_1) | instskip(NEXT) | instid1(VALU_DEP_1)
	v_lshlrev_b64 v[1:2], 2, v[1:2]
	v_add_co_u32 v1, vcc_lo, s63, v1
	s_delay_alu instid0(VALU_DEP_2)
	v_add_co_ci_u32_e32 v2, vcc_lo, s64, v2, vcc_lo
	global_load_b32 v1, v[1:2], off
.LBB6_43:                               ;   in Loop: Header=BB6_22 Depth=1
	s_or_b32 exec_lo, exec_lo, s39
	s_waitcnt vmcnt(0)
	ds_store_b32 v24, v1 offset:16396
	s_waitcnt lgkmcnt(0)
	s_barrier
	buffer_gl0_inv
	global_load_b32 v15, v21, s[20:21]
	ds_load_2addr_b32 v[1:2], v31 offset1:1
	ds_load_2addr_b32 v[3:4], v19 offset0:2 offset1:3
	ds_load_2addr_b32 v[5:6], v24 offset1:1
	ds_load_2addr_b32 v[7:8], v24 offset0:2 offset1:3
	ds_load_2addr_b32 v[11:12], v17 offset0:8 offset1:9
	;; [unrolled: 1-line block ×3, first 2 shown]
	s_add_i32 s39, s46, 0
	s_delay_alu instid0(SALU_CYCLE_1)
	v_add_nc_u32_e64 v34, 0x9000, s39
	s_waitcnt lgkmcnt(3)
	v_dual_mul_f32 v6, v2, v6 :: v_dual_mul_f32 v5, v1, v5
	s_waitcnt vmcnt(0)
	v_mul_f32_e32 v32, v2, v15
	v_mul_f32_e32 v33, v3, v15
	;; [unrolled: 1-line block ×4, first 2 shown]
	s_waitcnt lgkmcnt(2)
	v_dual_mul_f32 v3, v3, v7 :: v_dual_mul_f32 v32, 0x3fb8aa3b, v32
	s_delay_alu instid0(VALU_DEP_3) | instskip(SKIP_2) | instid1(VALU_DEP_3)
	v_dual_mul_f32 v35, 0x3fb8aa3b, v33 :: v_dual_mul_f32 v16, 0x3fb8aa3b, v16
	s_waitcnt lgkmcnt(1)
	v_dual_mul_f32 v2, v11, v5 :: v_dual_mul_f32 v5, 0x3fb8aa3b, v15
	v_exp_f32_e32 v33, v32
	s_delay_alu instid0(VALU_DEP_2)
	v_exp_f32_e32 v35, v35
	v_exp_f32_e32 v1, v16
	s_waitcnt lgkmcnt(0)
	v_dual_mul_f32 v15, v12, v6 :: v_dual_mul_f32 v16, v13, v3
	v_mul_f32_e32 v6, v4, v8
	v_exp_f32_e32 v32, v5
	ds_load_2addr_b32 v[11:12], v34 offset0:8 offset1:16
	v_fma_f32 v4, v2, v33, v15
	v_dual_mul_f32 v3, v1, v33 :: v_dual_mul_f32 v34, v14, v6
	s_delay_alu instid0(VALU_DEP_2) | instskip(NEXT) | instid1(VALU_DEP_2)
	v_fma_f32 v6, v4, v35, v16
	v_mul_f32_e32 v5, v3, v35
	s_delay_alu instid0(VALU_DEP_2) | instskip(NEXT) | instid1(VALU_DEP_1)
	v_fma_f32 v8, v6, v32, v34
	v_dual_mul_f32 v7, v5, v32 :: v_dual_mov_b32 v36, v8
	v_mov_b32_dpp v39, v8 row_shr:1 row_mask:0xf bank_mask:0xf
	s_delay_alu instid0(VALU_DEP_2)
	v_mov_b32_dpp v38, v7 row_shr:1 row_mask:0xf bank_mask:0xf
	v_dual_mov_b32 v37, v7 :: v_dual_mov_b32 v14, v8
	v_mov_b32_e32 v13, v7
	s_and_saveexec_b32 s44, s11
; %bb.44:                               ;   in Loop: Header=BB6_22 Depth=1
	s_delay_alu instid0(VALU_DEP_3) | instskip(NEXT) | instid1(VALU_DEP_1)
	v_dual_mov_b32 v36, v8 :: v_dual_mul_f32 v37, v7, v38
	v_dual_fmac_f32 v36, v7, v39 :: v_dual_mov_b32 v13, v37
	s_delay_alu instid0(VALU_DEP_1)
	v_mov_b32_e32 v14, v36
; %bb.45:                               ;   in Loop: Header=BB6_22 Depth=1
	s_or_b32 exec_lo, exec_lo, s44
	s_delay_alu instid0(VALU_DEP_2) | instskip(NEXT) | instid1(VALU_DEP_2)
	v_mov_b32_dpp v38, v13 row_shr:2 row_mask:0xf bank_mask:0xf
	v_mov_b32_dpp v39, v14 row_shr:2 row_mask:0xf bank_mask:0xf
	s_and_saveexec_b32 s44, s12
; %bb.46:                               ;   in Loop: Header=BB6_22 Depth=1
	s_delay_alu instid0(VALU_DEP_1) | instskip(NEXT) | instid1(VALU_DEP_1)
	v_fmac_f32_e32 v36, v37, v39
	v_dual_mul_f32 v13, v37, v38 :: v_dual_mov_b32 v14, v36
	s_delay_alu instid0(VALU_DEP_1)
	v_mov_b32_e32 v37, v13
; %bb.47:                               ;   in Loop: Header=BB6_22 Depth=1
	s_or_b32 exec_lo, exec_lo, s44
	v_mov_b32_dpp v38, v13 row_shr:4 row_mask:0xf bank_mask:0xf
	s_delay_alu instid0(VALU_DEP_3)
	v_mov_b32_dpp v39, v14 row_shr:4 row_mask:0xf bank_mask:0xf
	s_and_saveexec_b32 s44, s13
; %bb.48:                               ;   in Loop: Header=BB6_22 Depth=1
	s_delay_alu instid0(VALU_DEP_1) | instskip(NEXT) | instid1(VALU_DEP_1)
	v_fmac_f32_e32 v36, v37, v39
	v_dual_mul_f32 v13, v37, v38 :: v_dual_mov_b32 v14, v36
	s_delay_alu instid0(VALU_DEP_1)
	v_mov_b32_e32 v37, v13
; %bb.49:                               ;   in Loop: Header=BB6_22 Depth=1
	s_or_b32 exec_lo, exec_lo, s44
	v_mov_b32_dpp v38, v13 row_shr:8 row_mask:0xf bank_mask:0xf
	s_delay_alu instid0(VALU_DEP_3)
	v_mov_b32_dpp v39, v14 row_shr:8 row_mask:0xf bank_mask:0xf
	s_and_saveexec_b32 s44, s14
; %bb.50:                               ;   in Loop: Header=BB6_22 Depth=1
	s_delay_alu instid0(VALU_DEP_1) | instskip(NEXT) | instid1(VALU_DEP_1)
	v_fmac_f32_e32 v36, v37, v39
	v_dual_mul_f32 v13, v37, v38 :: v_dual_mov_b32 v14, v36
	s_delay_alu instid0(VALU_DEP_1)
	v_mov_b32_e32 v37, v13
; %bb.51:                               ;   in Loop: Header=BB6_22 Depth=1
	s_or_b32 exec_lo, exec_lo, s44
	ds_swizzle_b32 v38, v13 offset:swizzle(BROADCAST,32,15)
	ds_swizzle_b32 v39, v14 offset:swizzle(BROADCAST,32,15)
	s_and_saveexec_b32 s44, s16
	s_cbranch_execz .LBB6_53
; %bb.52:                               ;   in Loop: Header=BB6_22 Depth=1
	s_waitcnt lgkmcnt(0)
	v_fmac_f32_e32 v36, v37, v39
	s_delay_alu instid0(VALU_DEP_1) | instskip(NEXT) | instid1(VALU_DEP_1)
	v_dual_mul_f32 v37, v37, v38 :: v_dual_mov_b32 v14, v36
	v_mov_b32_e32 v13, v37
.LBB6_53:                               ;   in Loop: Header=BB6_22 Depth=1
	s_or_b32 exec_lo, exec_lo, s44
	s_and_saveexec_b32 s44, s9
	s_cbranch_execz .LBB6_55
; %bb.54:                               ;   in Loop: Header=BB6_22 Depth=1
	ds_store_2addr_b32 v27, v13, v14 offset1:1
.LBB6_55:                               ;   in Loop: Header=BB6_22 Depth=1
	s_or_b32 exec_lo, exec_lo, s44
	s_waitcnt lgkmcnt(0)
	s_barrier
	buffer_gl0_inv
	s_and_saveexec_b32 s44, s0
	s_cbranch_execz .LBB6_59
; %bb.56:                               ;   in Loop: Header=BB6_22 Depth=1
	ds_load_2addr_b32 v[13:14], v20 offset1:1
	s_waitcnt lgkmcnt(0)
	v_mov_b32_dpp v38, v13 row_shr:1 row_mask:0xf bank_mask:0xf
	v_mov_b32_dpp v39, v14 row_shr:1 row_mask:0xf bank_mask:0xf
	s_and_saveexec_b32 s45, s17
; %bb.57:                               ;   in Loop: Header=BB6_22 Depth=1
	s_delay_alu instid0(VALU_DEP_1) | instskip(NEXT) | instid1(VALU_DEP_3)
	v_fma_f32 v14, v13, v39, v14
	v_mul_f32_e32 v13, v13, v38
; %bb.58:                               ;   in Loop: Header=BB6_22 Depth=1
	s_or_b32 exec_lo, exec_lo, s45
	s_delay_alu instid0(VALU_DEP_1) | instskip(NEXT) | instid1(VALU_DEP_3)
	v_mov_b32_dpp v38, v13 row_shr:2 row_mask:0xf bank_mask:0xf
	v_mov_b32_dpp v39, v14 row_shr:2 row_mask:0xf bank_mask:0xf
	s_delay_alu instid0(VALU_DEP_2) | instskip(NEXT) | instid1(VALU_DEP_2)
	v_mul_f32_e32 v38, v13, v38
	v_fma_f32 v39, v13, v39, v14
	s_delay_alu instid0(VALU_DEP_2) | instskip(NEXT) | instid1(VALU_DEP_2)
	v_cndmask_b32_e64 v13, v13, v38, s18
	v_cndmask_b32_e64 v14, v14, v39, s18
	ds_store_2addr_b32 v20, v13, v14 offset1:1
.LBB6_59:                               ;   in Loop: Header=BB6_22 Depth=1
	s_or_b32 exec_lo, exec_lo, s44
	s_waitcnt lgkmcnt(0)
	s_barrier
	buffer_gl0_inv
                                        ; implicit-def: $vgpr14
	s_and_saveexec_b32 s44, s1
	s_cbranch_execz .LBB6_61
; %bb.60:                               ;   in Loop: Header=BB6_22 Depth=1
	ds_load_2addr_b32 v[13:14], v30 offset1:1
	s_waitcnt lgkmcnt(0)
	v_mul_f32_e32 v38, v37, v13
	s_delay_alu instid0(VALU_DEP_1)
	v_dual_fmac_f32 v36, v37, v14 :: v_dual_mov_b32 v37, v38
.LBB6_61:                               ;   in Loop: Header=BB6_22 Depth=1
	s_or_b32 exec_lo, exec_lo, s44
	ds_bpermute_b32 v37, v29, v37
	ds_bpermute_b32 v36, v29, v36
	s_and_saveexec_b32 s44, s2
	s_cbranch_execz .LBB6_63
; %bb.62:                               ;   in Loop: Header=BB6_22 Depth=1
	s_waitcnt lgkmcnt(0)
	v_cndmask_b32_e64 v3, v36, v14, s10
	v_cndmask_b32_e64 v4, v37, v13, s10
	;;#ASMSTART
	;;#ASMEND
	s_delay_alu instid0(VALU_DEP_2) | instskip(NEXT) | instid1(VALU_DEP_1)
	v_fmac_f32_e32 v2, v1, v3
	v_fmac_f32_e32 v15, v2, v33
	s_delay_alu instid0(VALU_DEP_1) | instskip(NEXT) | instid1(VALU_DEP_1)
	v_dual_mul_f32 v1, v1, v4 :: v_dual_fmac_f32 v16, v15, v35
	v_dual_fmac_f32 v34, v16, v32 :: v_dual_mul_f32 v3, v1, v33
	v_mov_b32_e32 v4, v15
	v_mov_b32_e32 v6, v16
	s_delay_alu instid0(VALU_DEP_3) | instskip(NEXT) | instid1(VALU_DEP_1)
	v_dual_mov_b32 v8, v34 :: v_dual_mul_f32 v5, v3, v35
	v_mul_f32_e32 v7, v5, v32
.LBB6_63:                               ;   in Loop: Header=BB6_22 Depth=1
	s_or_b32 exec_lo, exec_lo, s44
	s_clause 0x1
	scratch_store_b128 off, v[1:4], off
	scratch_store_b128 off, v[5:8], off offset:16
	s_waitcnt lgkmcnt(0)
	s_waitcnt_vscnt null, 0x0
	s_barrier
	buffer_gl0_inv
	s_clause 0x1
	scratch_load_b128 v[1:4], off, off
	scratch_load_b128 v[5:8], off, off offset:16
	v_add_nc_u32_e32 v13, 0x4000, v24
	v_add_nc_u32_e32 v14, 0x4008, v24
	ds_load_2addr_b32 v[15:16], v13 offset1:1
	ds_load_2addr_b32 v[13:14], v14 offset1:1
	s_and_saveexec_b32 s44, s8
	s_cbranch_execz .LBB6_21
; %bb.64:                               ;   in Loop: Header=BB6_22 Depth=1
	scratch_load_b64 v[32:33], v23, off
	s_add_i32 s66, s15, s65
	v_add_nc_u32_e64 v34, 0x9000, s39
	s_ashr_i32 s67, s66, 31
	s_delay_alu instid0(SALU_CYCLE_1) | instskip(NEXT) | instid1(SALU_CYCLE_1)
	s_lshl_b64 s[66:67], s[66:67], 2
	s_add_u32 s68, s28, s66
	s_addc_u32 s69, s29, s67
	s_add_u32 s66, s30, s66
	s_addc_u32 s67, s31, s67
	s_waitcnt vmcnt(0)
	v_mul_f32_e32 v11, v11, v32
	v_fmac_f32_e32 v33, v12, v32
	s_clause 0x1
	global_store_b32 v21, v11, s[68:69]
	global_store_b32 v21, v33, s[66:67]
	ds_store_2addr_b32 v34, v11, v33 offset0:8 offset1:16
	s_branch .LBB6_21
.LBB6_65:                               ;   in Loop: Header=BB6_22 Depth=1
                                        ; implicit-def: $sgpr44_sgpr45
                                        ; implicit-def: $vgpr1
	s_branch .LBB6_25
.LBB6_66:
	v_lshlrev_b64 v[1:2], 2, v[9:10]
	s_add_u32 s0, s26, s34
	s_addc_u32 s1, s27, s35
	s_add_u32 s0, s0, s40
	s_addc_u32 s1, s1, s41
	s_and_saveexec_b32 s2, s4
	s_cbranch_execnz .LBB6_74
; %bb.67:
	s_or_b32 exec_lo, exec_lo, s2
	s_and_saveexec_b32 s2, s5
	s_cbranch_execnz .LBB6_75
.LBB6_68:
	s_or_b32 exec_lo, exec_lo, s2
	s_and_saveexec_b32 s2, s6
	s_cbranch_execnz .LBB6_76
.LBB6_69:
	s_or_b32 exec_lo, exec_lo, s2
	s_and_saveexec_b32 s2, s7
	s_cbranch_execz .LBB6_71
.LBB6_70:
	v_add_co_u32 v1, vcc_lo, s0, v1
	v_add_co_ci_u32_e32 v2, vcc_lo, s1, v2, vcc_lo
	global_store_b32 v[1:2], v22, off offset:12
.LBB6_71:
	s_or_b32 exec_lo, exec_lo, s2
	s_add_i32 s33, s33, -1
	v_cmp_gt_u32_e32 vcc_lo, 8, v0
	s_cmp_eq_u32 s15, s33
	s_cselect_b32 s0, -1, 0
	s_delay_alu instid0(SALU_CYCLE_1) | instskip(NEXT) | instid1(SALU_CYCLE_1)
	s_and_b32 s0, vcc_lo, s0
	s_and_saveexec_b32 s1, s0
	s_cbranch_execz .LBB6_73
; %bb.72:
	v_lshl_add_u32 v1, v0, 2, 0
	v_add_nc_u32_e32 v0, s42, v0
	ds_load_b32 v2, v1 offset:36928
	v_ashrrev_i32_e32 v1, 31, v0
	s_delay_alu instid0(VALU_DEP_1) | instskip(NEXT) | instid1(VALU_DEP_1)
	v_lshlrev_b64 v[0:1], 2, v[0:1]
	v_add_co_u32 v0, vcc_lo, s24, v0
	s_delay_alu instid0(VALU_DEP_2)
	v_add_co_ci_u32_e32 v1, vcc_lo, s25, v1, vcc_lo
	s_waitcnt lgkmcnt(0)
	global_store_b32 v[0:1], v2, off
.LBB6_73:
	s_nop 0
	s_sendmsg sendmsg(MSG_DEALLOC_VGPRS)
	s_endpgm
.LBB6_74:
	v_add_co_u32 v3, vcc_lo, s0, v1
	v_add_co_ci_u32_e32 v4, vcc_lo, s1, v2, vcc_lo
	global_store_b32 v[3:4], v28, off
	s_or_b32 exec_lo, exec_lo, s2
	s_and_saveexec_b32 s2, s5
	s_cbranch_execz .LBB6_68
.LBB6_75:
	v_add_co_u32 v3, vcc_lo, s0, v1
	v_add_co_ci_u32_e32 v4, vcc_lo, s1, v2, vcc_lo
	global_store_b32 v[3:4], v26, off offset:4
	s_or_b32 exec_lo, exec_lo, s2
	s_and_saveexec_b32 s2, s6
	s_cbranch_execz .LBB6_69
.LBB6_76:
	v_add_co_u32 v3, vcc_lo, s0, v1
	v_add_co_ci_u32_e32 v4, vcc_lo, s1, v2, vcc_lo
	global_store_b32 v[3:4], v25, off offset:8
	s_or_b32 exec_lo, exec_lo, s2
	s_and_saveexec_b32 s2, s7
	s_cbranch_execnz .LBB6_70
	s_branch .LBB6_71
	.section	.rodata,"a",@progbits
	.p2align	6, 0x0
	.amdhsa_kernel _Z26selective_scan_vllm_kernelI18SSMFwdKernelTraitsILi128ELi4ELi8ELb0ELb1ELb0EEEv13SSMParamsBase
		.amdhsa_group_segment_fixed_size 0
		.amdhsa_private_segment_fixed_size 48
		.amdhsa_kernarg_size 144
		.amdhsa_user_sgpr_count 14
		.amdhsa_user_sgpr_dispatch_ptr 0
		.amdhsa_user_sgpr_queue_ptr 0
		.amdhsa_user_sgpr_kernarg_segment_ptr 1
		.amdhsa_user_sgpr_dispatch_id 0
		.amdhsa_user_sgpr_private_segment_size 0
		.amdhsa_wavefront_size32 1
		.amdhsa_uses_dynamic_stack 0
		.amdhsa_enable_private_segment 1
		.amdhsa_system_sgpr_workgroup_id_x 1
		.amdhsa_system_sgpr_workgroup_id_y 1
		.amdhsa_system_sgpr_workgroup_id_z 0
		.amdhsa_system_sgpr_workgroup_info 0
		.amdhsa_system_vgpr_workitem_id 0
		.amdhsa_next_free_vgpr 40
		.amdhsa_next_free_sgpr 70
		.amdhsa_reserve_vcc 1
		.amdhsa_float_round_mode_32 0
		.amdhsa_float_round_mode_16_64 0
		.amdhsa_float_denorm_mode_32 3
		.amdhsa_float_denorm_mode_16_64 3
		.amdhsa_dx10_clamp 1
		.amdhsa_ieee_mode 1
		.amdhsa_fp16_overflow 0
		.amdhsa_workgroup_processor_mode 1
		.amdhsa_memory_ordered 1
		.amdhsa_forward_progress 0
		.amdhsa_shared_vgpr_count 0
		.amdhsa_exception_fp_ieee_invalid_op 0
		.amdhsa_exception_fp_denorm_src 0
		.amdhsa_exception_fp_ieee_div_zero 0
		.amdhsa_exception_fp_ieee_overflow 0
		.amdhsa_exception_fp_ieee_underflow 0
		.amdhsa_exception_fp_ieee_inexact 0
		.amdhsa_exception_int_div_zero 0
	.end_amdhsa_kernel
	.section	.text._Z26selective_scan_vllm_kernelI18SSMFwdKernelTraitsILi128ELi4ELi8ELb0ELb1ELb0EEEv13SSMParamsBase,"axG",@progbits,_Z26selective_scan_vllm_kernelI18SSMFwdKernelTraitsILi128ELi4ELi8ELb0ELb1ELb0EEEv13SSMParamsBase,comdat
.Lfunc_end6:
	.size	_Z26selective_scan_vllm_kernelI18SSMFwdKernelTraitsILi128ELi4ELi8ELb0ELb1ELb0EEEv13SSMParamsBase, .Lfunc_end6-_Z26selective_scan_vllm_kernelI18SSMFwdKernelTraitsILi128ELi4ELi8ELb0ELb1ELb0EEEv13SSMParamsBase
                                        ; -- End function
	.section	.AMDGPU.csdata,"",@progbits
; Kernel info:
; codeLenInByte = 4292
; NumSgprs: 72
; NumVgprs: 40
; ScratchSize: 48
; MemoryBound: 0
; FloatMode: 240
; IeeeMode: 1
; LDSByteSize: 0 bytes/workgroup (compile time only)
; SGPRBlocks: 8
; VGPRBlocks: 4
; NumSGPRsForWavesPerEU: 72
; NumVGPRsForWavesPerEU: 40
; Occupancy: 16
; WaveLimiterHint : 0
; COMPUTE_PGM_RSRC2:SCRATCH_EN: 1
; COMPUTE_PGM_RSRC2:USER_SGPR: 14
; COMPUTE_PGM_RSRC2:TRAP_HANDLER: 0
; COMPUTE_PGM_RSRC2:TGID_X_EN: 1
; COMPUTE_PGM_RSRC2:TGID_Y_EN: 1
; COMPUTE_PGM_RSRC2:TGID_Z_EN: 0
; COMPUTE_PGM_RSRC2:TIDIG_COMP_CNT: 0
	.section	.text._Z26selective_scan_vllm_kernelI18SSMFwdKernelTraitsILi128ELi4ELi8ELb0ELb0ELb1EEEv13SSMParamsBase,"axG",@progbits,_Z26selective_scan_vllm_kernelI18SSMFwdKernelTraitsILi128ELi4ELi8ELb0ELb0ELb1EEEv13SSMParamsBase,comdat
	.protected	_Z26selective_scan_vllm_kernelI18SSMFwdKernelTraitsILi128ELi4ELi8ELb0ELb0ELb1EEEv13SSMParamsBase ; -- Begin function _Z26selective_scan_vllm_kernelI18SSMFwdKernelTraitsILi128ELi4ELi8ELb0ELb0ELb1EEEv13SSMParamsBase
	.globl	_Z26selective_scan_vllm_kernelI18SSMFwdKernelTraitsILi128ELi4ELi8ELb0ELb0ELb1EEEv13SSMParamsBase
	.p2align	8
	.type	_Z26selective_scan_vllm_kernelI18SSMFwdKernelTraitsILi128ELi4ELi8ELb0ELb0ELb1EEEv13SSMParamsBase,@function
_Z26selective_scan_vllm_kernelI18SSMFwdKernelTraitsILi128ELi4ELi8ELb0ELb0ELb1EEEv13SSMParamsBase: ; @_Z26selective_scan_vllm_kernelI18SSMFwdKernelTraitsILi128ELi4ELi8ELb0ELb0ELb1EEEv13SSMParamsBase
; %bb.0:
	s_clause 0x7
	s_load_b32 s2, s[0:1], 0x4
	s_load_b32 s33, s[0:1], 0x10
	s_load_b128 s[36:39], s[0:1], 0x38
	s_load_b64 s[6:7], s[0:1], 0x48
	s_load_b256 s[16:23], s[0:1], 0x58
	s_load_b64 s[44:45], s[0:1], 0x88
	s_load_b128 s[40:43], s[0:1], 0x78
	s_load_b256 s[24:31], s[0:1], 0x18
	v_cmp_eq_u32_e64 s1, 0, v0
	s_abs_i32 s8, s14
	s_ashr_i32 s5, s14, 31
	s_mov_b32 s46, 0
	s_waitcnt lgkmcnt(0)
	s_abs_i32 s3, s2
	s_ashr_i32 s9, s2, 31
	v_cvt_f32_u32_e32 v1, s3
	s_sub_i32 s0, 0, s3
	s_delay_alu instid0(VALU_DEP_1) | instskip(SKIP_2) | instid1(VALU_DEP_1)
	v_rcp_iflag_f32_e32 v1, v1
	s_waitcnt_depctr 0xfff
	v_mul_f32_e32 v1, 0x4f7ffffe, v1
	v_cvt_u32_f32_e32 v1, v1
	s_delay_alu instid0(VALU_DEP_1) | instskip(NEXT) | instid1(VALU_DEP_1)
	v_readfirstlane_b32 s4, v1
	s_mul_i32 s0, s0, s4
	s_delay_alu instid0(SALU_CYCLE_1) | instskip(SKIP_2) | instid1(SALU_CYCLE_1)
	s_mul_hi_u32 s10, s4, s0
	v_cmp_ne_u32_e64 s0, 0, v0
	s_add_i32 s4, s4, s10
	s_mul_hi_u32 s4, s8, s4
	s_and_saveexec_b32 s10, s1
	s_cbranch_execz .LBB7_2
; %bb.1:
	v_dual_mov_b32 v1, 0x7f :: v_dual_mov_b32 v2, 3
	v_mov_b32_e32 v3, 0
	ds_store_b64 v3, v[1:2] offset:36960
.LBB7_2:
	s_or_b32 exec_lo, exec_lo, s10
	s_mul_i32 s10, s4, s3
	s_xor_b32 s5, s5, s9
	s_sub_i32 s8, s8, s10
	s_add_i32 s9, s4, 1
	s_sub_i32 s10, s8, s3
	s_cmp_ge_u32 s8, s3
	v_dual_mov_b32 v22, 0 :: v_dual_lshlrev_b32 v11, 2, v0
	s_cselect_b32 s4, s9, s4
	s_cselect_b32 s8, s10, s8
	s_add_i32 s9, s4, 1
	s_cmp_ge_u32 s8, s3
	s_waitcnt lgkmcnt(0)
	s_cselect_b32 s3, s9, s4
	s_lshl_b32 s13, s15, 9
	s_xor_b32 s3, s3, s5
	v_or_b32_e32 v1, s13, v11
	s_sub_i32 s47, s3, s5
	s_barrier
	s_mul_i32 s4, s47, s2
	s_mul_i32 s2, s47, s40
	s_sub_i32 s40, s14, s4
	s_ashr_i32 s3, s2, 31
	v_ashrrev_i32_e32 v2, 31, v1
	s_lshl_b64 s[34:35], s[2:3], 2
	s_mul_i32 s2, s40, s41
	s_add_u32 s4, s24, s34
	s_addc_u32 s5, s25, s35
	s_ashr_i32 s3, s2, 31
	v_lshlrev_b64 v[13:14], 2, v[1:2]
	s_lshl_b64 s[24:25], s[2:3], 2
	buffer_gl0_inv
	s_add_u32 s2, s4, s24
	s_addc_u32 s3, s5, s25
	s_add_u32 s4, s26, s34
	s_addc_u32 s5, s27, s35
	;; [unrolled: 2-line block ×3, first 2 shown]
	v_add_co_u32 v1, vcc_lo, s4, v13
	v_add_co_ci_u32_e32 v2, vcc_lo, s5, v14, vcc_lo
	v_add_co_u32 v5, vcc_lo, s2, v13
	v_add_co_ci_u32_e32 v6, vcc_lo, s3, v14, vcc_lo
	global_load_b128 v[1:4], v[1:2], off
	global_load_b128 v[5:8], v[5:6], off
	s_ashr_i32 s41, s40, 31
	s_mul_i32 s48, s14, s33
	s_lshl_b64 s[26:27], s[40:41], 2
	v_mbcnt_lo_u32_b32 v15, -1, 0
	s_add_u32 s6, s6, s26
	s_addc_u32 s7, s7, s27
	s_add_u32 s26, s38, s26
	s_load_b32 s14, s[6:7], 0x0
	v_lshlrev_b32_e32 v12, 4, v0
	v_and_b32_e32 v19, 3, v15
	ds_load_b64 v[9:10], v22 offset:36960
	s_addc_u32 s27, s39, s27
	v_or_b32_e32 v16, 31, v0
	v_lshrrev_b32_e32 v17, 2, v0
	s_mul_i32 s41, s47, s42
	s_mul_i32 s47, s47, s44
	v_and_b32_e32 v18, 16, v15
	v_cmp_eq_u32_e64 s4, v16, v0
	v_add_nc_u32_e32 v16, -1, v15
	v_cmp_eq_u32_e64 s5, 0, v15
	v_cmp_gt_u32_e64 s2, 4, v0
	v_cmp_lt_u32_e64 s3, 31, v0
	v_lshl_add_u32 v23, v0, 3, 0
	v_cmp_gt_i32_e32 vcc_lo, 0, v16
	v_and_b32_e32 v17, 24, v17
	v_cmp_ne_u32_e64 s10, 0, v18
	s_waitcnt vmcnt(1) lgkmcnt(0)
	v_dual_add_f32 v1, s14, v1 :: v_dual_add_nc_u32 v24, 0, v12
	v_add_f32_e32 v3, s14, v3
	v_add3_u32 v25, 0, 32, v12
	v_add_f32_e32 v2, s14, v2
	v_add3_u32 v26, 0, 0x820, v12
	v_add_nc_u32_e32 v27, 0x820, v24
	v_add_f32_e32 v4, s14, v4
	s_waitcnt vmcnt(0)
	ds_store_2addr_b32 v24, v5, v6 offset0:8 offset1:9
	ds_store_2addr_b32 v25, v7, v8 offset0:2 offset1:3
	ds_store_2addr_b32 v27, v1, v2 offset1:1
	ds_store_2addr_b32 v26, v3, v4 offset0:2 offset1:3
	v_lshlrev_b32_e32 v5, 3, v10
	s_waitcnt lgkmcnt(0)
	s_barrier
	buffer_gl0_inv
	s_load_b32 s38, s[26:27], 0x0
	ds_load_2addr_b32 v[1:2], v24 offset0:8 offset1:9
	ds_load_2addr_b32 v[3:4], v25 offset0:2 offset1:3
	v_and_b32_e32 v12, 15, v15
	s_lshl_b32 s26, s40, 3
	s_mul_i32 s14, s40, s45
	s_cmp_lg_u32 s15, 0
	v_cmp_ne_u32_e64 s11, 0, v19
	s_cselect_b32 s40, -1, 0
	s_add_i32 s14, s14, s47
	v_cmp_lt_u32_e64 s12, 1, v19
	v_add_nc_u32_e32 v29, 0x1020, v24
	v_add_nc_u32_e32 v32, 0, v5
	s_waitcnt lgkmcnt(0)
	v_mul_f32_e32 v1, s38, v1
	v_cmp_ne_u32_e64 s6, 0, v12
	v_cmp_lt_u32_e64 s7, 1, v12
	v_cmp_lt_u32_e64 s8, 3, v12
	;; [unrolled: 1-line block ×3, first 2 shown]
	v_cndmask_b32_e32 v12, v16, v15, vcc_lo
	v_add3_u32 v15, s41, s13, v11
	s_ashr_i32 s41, s15, 31
	v_dual_mul_f32 v3, s38, v3 :: v_dual_add_nc_u32 v28, 0, v17
	s_add_u32 s42, s20, -4
	s_addc_u32 s44, s21, -1
	s_add_u32 s45, s22, -4
	s_addc_u32 s47, s23, -1
	s_ashr_i32 s27, s26, 31
	v_lshlrev_b32_e32 v30, 2, v12
	v_add_nc_u32_e32 v31, -8, v28
	v_cmp_eq_u32_e64 s13, v0, v9
	s_lshl_b64 s[26:27], s[26:27], 2
	v_mul_f32_e32 v2, s38, v2
	v_mul_f32_e32 v4, s38, v4
	s_lshl_b32 s48, s48, 3
	s_add_u32 s26, s28, s26
	s_addc_u32 s27, s29, s27
	s_add_i32 s49, 0, 0x9020
	s_mov_b32 s28, s14
	s_branch .LBB7_4
.LBB7_3:                                ;   in Loop: Header=BB7_4 Depth=1
	s_or_b32 exec_lo, exec_lo, s29
	s_waitcnt vmcnt(1)
	v_fma_f32 v9, v17, v9, v10
	v_fmac_f32_e32 v12, v17, v11
	s_waitcnt vmcnt(0)
	v_fma_f32 v5, v17, v5, v6
	v_fmac_f32_e32 v8, v17, v7
	s_add_i32 s49, s49, 4
	s_waitcnt lgkmcnt(1)
	v_dual_fmac_f32 v1, v20, v9 :: v_dual_fmac_f32 v2, v21, v12
	v_add_nc_u32_e32 v15, s43, v15
	s_waitcnt lgkmcnt(0)
	v_dual_fmac_f32 v3, v18, v5 :: v_dual_fmac_f32 v4, v19, v8
	s_addk_i32 s46, 0x800
	s_add_i32 s28, s28, 1
	s_add_i32 s48, s48, s33
	s_add_u32 s26, s26, 4
	s_addc_u32 s27, s27, 0
	s_cmpk_eq_i32 s46, 0x4000
	s_waitcnt_vscnt null, 0x0
	s_barrier
	buffer_gl0_inv
	s_cbranch_scc1 .LBB7_32
.LBB7_4:                                ; =>This Inner Loop Header: Depth=1
	s_and_saveexec_b32 s50, s1
	s_cbranch_execz .LBB7_9
; %bb.5:                                ;   in Loop: Header=BB7_4 Depth=1
	s_and_b32 vcc_lo, exec_lo, s40
	s_cbranch_vccz .LBB7_31
; %bb.6:                                ;   in Loop: Header=BB7_4 Depth=1
	s_ashr_i32 s29, s48, 31
	s_add_u32 s38, s15, s48
	s_addc_u32 s39, s41, s29
	s_delay_alu instid0(SALU_CYCLE_1) | instskip(NEXT) | instid1(SALU_CYCLE_1)
	s_lshl_b64 s[38:39], s[38:39], 2
	s_add_u32 s52, s42, s38
	s_addc_u32 s53, s44, s39
	s_add_u32 s38, s45, s38
	global_load_b32 v5, v22, s[52:53]
	s_addc_u32 s39, s47, s39
	s_cbranch_execnz .LBB7_8
.LBB7_7:                                ;   in Loop: Header=BB7_4 Depth=1
	s_ashr_i32 s29, s28, 31
	s_waitcnt vmcnt(0)
	v_mov_b32_e32 v5, 1.0
	s_lshl_b64 s[38:39], s[28:29], 2
	s_delay_alu instid0(SALU_CYCLE_1)
	s_add_u32 s38, s16, s38
	s_addc_u32 s39, s17, s39
.LBB7_8:                                ;   in Loop: Header=BB7_4 Depth=1
	global_load_b32 v6, v22, s[38:39]
	v_mov_b32_e32 v7, s49
	s_waitcnt vmcnt(0)
	ds_store_2addr_b32 v7, v5, v6 offset1:8
.LBB7_9:                                ;   in Loop: Header=BB7_4 Depth=1
	s_or_b32 exec_lo, exec_lo, s50
	v_ashrrev_i32_e32 v16, 31, v15
	v_mov_b32_e32 v37, s49
	s_delay_alu instid0(VALU_DEP_2) | instskip(SKIP_1) | instid1(VALU_DEP_1)
	v_lshlrev_b64 v[5:6], 2, v[15:16]
	v_add_nc_u32_e32 v16, s46, v29
	v_add_nc_u32_e32 v20, 0x4000, v16
	s_delay_alu instid0(VALU_DEP_3) | instskip(NEXT) | instid1(VALU_DEP_4)
	v_add_co_u32 v7, vcc_lo, s30, v5
	v_add_co_ci_u32_e32 v8, vcc_lo, s31, v6, vcc_lo
	v_add_co_u32 v9, vcc_lo, s36, v5
	v_add_co_ci_u32_e32 v10, vcc_lo, s37, v6, vcc_lo
	global_load_b128 v[5:8], v[7:8], off
	global_load_b128 v[9:12], v[9:10], off
	v_add_nc_u32_e32 v33, 0x4008, v16
	s_waitcnt vmcnt(1)
	ds_store_2addr_b32 v16, v5, v6 offset1:1
	ds_store_2addr_b32 v16, v7, v8 offset0:2 offset1:3
	s_waitcnt vmcnt(0)
	ds_store_2addr_b32 v20, v9, v10 offset1:1
	ds_store_2addr_b32 v33, v11, v12 offset1:1
	s_waitcnt lgkmcnt(0)
	s_barrier
	buffer_gl0_inv
	global_load_b32 v21, v22, s[26:27]
	ds_load_2addr_b32 v[5:6], v27 offset1:1
	ds_load_2addr_b32 v[7:8], v26 offset0:2 offset1:3
	ds_load_2addr_b32 v[9:10], v16 offset1:1
	ds_load_2addr_b32 v[11:12], v16 offset0:2 offset1:3
	ds_load_2addr_b32 v[16:17], v24 offset0:8 offset1:9
	ds_load_2addr_b32 v[18:19], v25 offset0:2 offset1:3
	s_waitcnt lgkmcnt(3)
	v_dual_mul_f32 v10, v6, v10 :: v_dual_mul_f32 v9, v5, v9
	s_waitcnt vmcnt(0)
	v_mul_f32_e32 v34, v5, v21
	v_mul_f32_e32 v35, v6, v21
	;; [unrolled: 1-line block ×3, first 2 shown]
	s_waitcnt lgkmcnt(1)
	v_dual_mul_f32 v7, v7, v11 :: v_dual_mul_f32 v6, v16, v9
	s_delay_alu instid0(VALU_DEP_3) | instskip(NEXT) | instid1(VALU_DEP_3)
	v_dual_mul_f32 v34, 0x3fb8aa3b, v34 :: v_dual_mul_f32 v35, 0x3fb8aa3b, v35
	v_dual_mul_f32 v21, v8, v21 :: v_dual_mul_f32 v38, 0x3fb8aa3b, v36
	s_delay_alu instid0(VALU_DEP_2) | instskip(NEXT) | instid1(VALU_DEP_2)
	v_exp_f32_e32 v5, v34
	v_exp_f32_e32 v36, v35
	s_delay_alu instid0(VALU_DEP_1) | instskip(NEXT) | instid1(VALU_DEP_2)
	v_mul_f32_e32 v9, 0x3fb8aa3b, v21
	v_exp_f32_e32 v38, v38
	v_dual_mul_f32 v21, v17, v10 :: v_dual_mul_f32 v10, v8, v12
	s_waitcnt lgkmcnt(0)
	v_mul_f32_e32 v34, v18, v7
	v_exp_f32_e32 v35, v9
	ds_load_2addr_b32 v[16:17], v37 offset1:8
	v_mul_f32_e32 v37, v19, v10
	v_mul_f32_e32 v7, v5, v36
	v_fma_f32 v8, v6, v36, v21
	s_delay_alu instid0(VALU_DEP_2) | instskip(NEXT) | instid1(VALU_DEP_2)
	v_mul_f32_e32 v9, v7, v38
	v_fma_f32 v10, v8, v38, v34
	s_delay_alu instid0(VALU_DEP_2) | instskip(NEXT) | instid1(VALU_DEP_2)
	;; [unrolled: 3-line block ×3, first 2 shown]
	v_mov_b32_dpp v41, v11 row_shr:1 row_mask:0xf bank_mask:0xf
	v_mov_b32_dpp v42, v12 row_shr:1 row_mask:0xf bank_mask:0xf
	v_dual_mov_b32 v39, v12 :: v_dual_mov_b32 v40, v11
	v_dual_mov_b32 v18, v11 :: v_dual_mov_b32 v19, v12
	s_and_saveexec_b32 s29, s6
; %bb.10:                               ;   in Loop: Header=BB7_4 Depth=1
	v_dual_mov_b32 v39, v12 :: v_dual_mul_f32 v40, v11, v41
	s_delay_alu instid0(VALU_DEP_1) | instskip(NEXT) | instid1(VALU_DEP_1)
	v_dual_fmac_f32 v39, v11, v42 :: v_dual_mov_b32 v18, v40
	v_mov_b32_e32 v19, v39
; %bb.11:                               ;   in Loop: Header=BB7_4 Depth=1
	s_or_b32 exec_lo, exec_lo, s29
	s_delay_alu instid0(VALU_DEP_2) | instskip(NEXT) | instid1(VALU_DEP_2)
	v_mov_b32_dpp v41, v18 row_shr:2 row_mask:0xf bank_mask:0xf
	v_mov_b32_dpp v42, v19 row_shr:2 row_mask:0xf bank_mask:0xf
	s_and_saveexec_b32 s29, s7
; %bb.12:                               ;   in Loop: Header=BB7_4 Depth=1
	s_delay_alu instid0(VALU_DEP_2) | instskip(NEXT) | instid1(VALU_DEP_1)
	v_mul_f32_e32 v18, v40, v41
	v_dual_fmac_f32 v39, v40, v42 :: v_dual_mov_b32 v40, v18
	s_delay_alu instid0(VALU_DEP_1)
	v_mov_b32_e32 v19, v39
; %bb.13:                               ;   in Loop: Header=BB7_4 Depth=1
	s_or_b32 exec_lo, exec_lo, s29
	v_mov_b32_dpp v41, v18 row_shr:4 row_mask:0xf bank_mask:0xf
	s_delay_alu instid0(VALU_DEP_2)
	v_mov_b32_dpp v42, v19 row_shr:4 row_mask:0xf bank_mask:0xf
	s_and_saveexec_b32 s29, s8
; %bb.14:                               ;   in Loop: Header=BB7_4 Depth=1
	s_delay_alu instid0(VALU_DEP_2) | instskip(NEXT) | instid1(VALU_DEP_1)
	v_mul_f32_e32 v18, v40, v41
	v_dual_fmac_f32 v39, v40, v42 :: v_dual_mov_b32 v40, v18
	s_delay_alu instid0(VALU_DEP_1)
	v_mov_b32_e32 v19, v39
; %bb.15:                               ;   in Loop: Header=BB7_4 Depth=1
	s_or_b32 exec_lo, exec_lo, s29
	v_mov_b32_dpp v41, v18 row_shr:8 row_mask:0xf bank_mask:0xf
	s_delay_alu instid0(VALU_DEP_2)
	v_mov_b32_dpp v42, v19 row_shr:8 row_mask:0xf bank_mask:0xf
	s_and_saveexec_b32 s29, s9
; %bb.16:                               ;   in Loop: Header=BB7_4 Depth=1
	s_delay_alu instid0(VALU_DEP_2) | instskip(NEXT) | instid1(VALU_DEP_1)
	v_mul_f32_e32 v18, v40, v41
	v_dual_fmac_f32 v39, v40, v42 :: v_dual_mov_b32 v40, v18
	s_delay_alu instid0(VALU_DEP_1)
	v_mov_b32_e32 v19, v39
; %bb.17:                               ;   in Loop: Header=BB7_4 Depth=1
	s_or_b32 exec_lo, exec_lo, s29
	ds_swizzle_b32 v41, v18 offset:swizzle(BROADCAST,32,15)
	ds_swizzle_b32 v42, v19 offset:swizzle(BROADCAST,32,15)
	s_and_saveexec_b32 s29, s10
	s_cbranch_execz .LBB7_19
; %bb.18:                               ;   in Loop: Header=BB7_4 Depth=1
	s_waitcnt lgkmcnt(0)
	v_fmac_f32_e32 v39, v40, v42
	s_delay_alu instid0(VALU_DEP_1) | instskip(NEXT) | instid1(VALU_DEP_1)
	v_dual_mul_f32 v40, v40, v41 :: v_dual_mov_b32 v19, v39
	v_mov_b32_e32 v18, v40
.LBB7_19:                               ;   in Loop: Header=BB7_4 Depth=1
	s_or_b32 exec_lo, exec_lo, s29
	s_and_saveexec_b32 s29, s4
	s_cbranch_execz .LBB7_21
; %bb.20:                               ;   in Loop: Header=BB7_4 Depth=1
	ds_store_2addr_b32 v28, v18, v19 offset1:1
.LBB7_21:                               ;   in Loop: Header=BB7_4 Depth=1
	s_or_b32 exec_lo, exec_lo, s29
	s_waitcnt lgkmcnt(0)
	s_barrier
	buffer_gl0_inv
	s_and_saveexec_b32 s29, s2
	s_cbranch_execz .LBB7_25
; %bb.22:                               ;   in Loop: Header=BB7_4 Depth=1
	ds_load_2addr_b32 v[18:19], v23 offset1:1
	s_waitcnt lgkmcnt(0)
	v_mov_b32_dpp v41, v18 row_shr:1 row_mask:0xf bank_mask:0xf
	v_mov_b32_dpp v42, v19 row_shr:1 row_mask:0xf bank_mask:0xf
	s_and_saveexec_b32 s38, s11
; %bb.23:                               ;   in Loop: Header=BB7_4 Depth=1
	s_delay_alu instid0(VALU_DEP_1) | instskip(NEXT) | instid1(VALU_DEP_3)
	v_fma_f32 v19, v18, v42, v19
	v_mul_f32_e32 v18, v18, v41
; %bb.24:                               ;   in Loop: Header=BB7_4 Depth=1
	s_or_b32 exec_lo, exec_lo, s38
	s_delay_alu instid0(VALU_DEP_1) | instskip(NEXT) | instid1(VALU_DEP_3)
	v_mov_b32_dpp v41, v18 row_shr:2 row_mask:0xf bank_mask:0xf
	v_mov_b32_dpp v42, v19 row_shr:2 row_mask:0xf bank_mask:0xf
	s_delay_alu instid0(VALU_DEP_2) | instskip(NEXT) | instid1(VALU_DEP_2)
	v_mul_f32_e32 v41, v18, v41
	v_fma_f32 v42, v18, v42, v19
	s_delay_alu instid0(VALU_DEP_2) | instskip(NEXT) | instid1(VALU_DEP_2)
	v_cndmask_b32_e64 v18, v18, v41, s12
	v_cndmask_b32_e64 v19, v19, v42, s12
	ds_store_2addr_b32 v23, v18, v19 offset1:1
.LBB7_25:                               ;   in Loop: Header=BB7_4 Depth=1
	s_or_b32 exec_lo, exec_lo, s29
	s_waitcnt lgkmcnt(0)
	s_barrier
	buffer_gl0_inv
                                        ; implicit-def: $vgpr19
	s_and_saveexec_b32 s29, s3
	s_cbranch_execz .LBB7_27
; %bb.26:                               ;   in Loop: Header=BB7_4 Depth=1
	ds_load_2addr_b32 v[18:19], v31 offset1:1
	s_waitcnt lgkmcnt(0)
	v_mul_f32_e32 v41, v40, v18
	s_delay_alu instid0(VALU_DEP_1)
	v_dual_fmac_f32 v39, v40, v19 :: v_dual_mov_b32 v40, v41
.LBB7_27:                               ;   in Loop: Header=BB7_4 Depth=1
	s_or_b32 exec_lo, exec_lo, s29
	ds_bpermute_b32 v40, v30, v40
	ds_bpermute_b32 v39, v30, v39
	s_and_saveexec_b32 s29, s0
	s_cbranch_execz .LBB7_29
; %bb.28:                               ;   in Loop: Header=BB7_4 Depth=1
	s_waitcnt lgkmcnt(0)
	v_cndmask_b32_e64 v7, v39, v19, s5
	v_cndmask_b32_e64 v8, v40, v18, s5
	;;#ASMSTART
	;;#ASMEND
	s_delay_alu instid0(VALU_DEP_2) | instskip(NEXT) | instid1(VALU_DEP_2)
	v_fmac_f32_e32 v6, v5, v7
	v_mul_f32_e32 v5, v5, v8
	s_delay_alu instid0(VALU_DEP_1) | instskip(NEXT) | instid1(VALU_DEP_1)
	v_mul_f32_e32 v7, v5, v36
	v_mul_f32_e32 v9, v7, v38
	s_delay_alu instid0(VALU_DEP_4) | instskip(NEXT) | instid1(VALU_DEP_2)
	v_fmac_f32_e32 v21, v6, v36
	v_mul_f32_e32 v11, v9, v35
	s_delay_alu instid0(VALU_DEP_2) | instskip(NEXT) | instid1(VALU_DEP_1)
	v_fmac_f32_e32 v34, v21, v38
	v_fmac_f32_e32 v37, v34, v35
	v_mov_b32_e32 v10, v34
	s_delay_alu instid0(VALU_DEP_2)
	v_mov_b32_e32 v12, v37
	v_mov_b32_e32 v8, v21
.LBB7_29:                               ;   in Loop: Header=BB7_4 Depth=1
	s_or_b32 exec_lo, exec_lo, s29
	s_clause 0x1
	scratch_store_b128 off, v[5:8], off
	scratch_store_b128 off, v[9:12], off offset:16
	s_waitcnt lgkmcnt(0)
	s_waitcnt_vscnt null, 0x0
	s_barrier
	buffer_gl0_inv
	s_clause 0x1
	scratch_load_b128 v[9:12], off, off
	scratch_load_b128 v[5:8], off, off offset:16
	ds_load_2addr_b32 v[20:21], v20 offset1:1
	ds_load_2addr_b32 v[18:19], v33 offset1:1
	s_and_saveexec_b32 s29, s13
	s_cbranch_execz .LBB7_3
; %bb.30:                               ;   in Loop: Header=BB7_4 Depth=1
	scratch_load_b64 v[33:34], v32, off
	s_add_i32 s38, s15, s48
	v_mov_b32_e32 v35, s49
	s_ashr_i32 s39, s38, 31
	s_delay_alu instid0(SALU_CYCLE_1) | instskip(NEXT) | instid1(SALU_CYCLE_1)
	s_lshl_b64 s[38:39], s[38:39], 2
	s_add_u32 s50, s20, s38
	s_addc_u32 s51, s21, s39
	s_add_u32 s38, s22, s38
	s_addc_u32 s39, s23, s39
	s_waitcnt vmcnt(0)
	v_mul_f32_e32 v16, v16, v33
	v_fmac_f32_e32 v34, v17, v33
	s_clause 0x1
	global_store_b32 v22, v16, s[50:51]
	global_store_b32 v22, v34, s[38:39]
	ds_store_2addr_b32 v35, v16, v34 offset1:8
	s_branch .LBB7_3
.LBB7_31:                               ;   in Loop: Header=BB7_4 Depth=1
                                        ; implicit-def: $sgpr38_sgpr39
                                        ; implicit-def: $vgpr5
	s_branch .LBB7_7
.LBB7_32:
	s_add_u32 s0, s18, s34
	s_addc_u32 s1, s19, s35
	s_add_u32 s0, s0, s24
	s_addc_u32 s1, s1, s25
	v_add_co_u32 v5, vcc_lo, s0, v13
	v_add_co_ci_u32_e32 v6, vcc_lo, s1, v14, vcc_lo
	s_add_i32 s33, s33, -1
	v_cmp_gt_u32_e32 vcc_lo, 8, v0
	s_cmp_eq_u32 s15, s33
	global_store_b128 v[5:6], v[1:4], off
	s_cselect_b32 s0, -1, 0
	s_delay_alu instid0(SALU_CYCLE_1) | instskip(NEXT) | instid1(SALU_CYCLE_1)
	s_and_b32 s0, vcc_lo, s0
	s_and_saveexec_b32 s1, s0
	s_cbranch_execz .LBB7_34
; %bb.33:
	v_lshl_add_u32 v1, v0, 2, 0
	v_add_nc_u32_e32 v0, s14, v0
	ds_load_b32 v2, v1 offset:36928
	v_ashrrev_i32_e32 v1, 31, v0
	s_delay_alu instid0(VALU_DEP_1) | instskip(NEXT) | instid1(VALU_DEP_1)
	v_lshlrev_b64 v[0:1], 2, v[0:1]
	v_add_co_u32 v0, vcc_lo, s16, v0
	s_delay_alu instid0(VALU_DEP_2)
	v_add_co_ci_u32_e32 v1, vcc_lo, s17, v1, vcc_lo
	s_waitcnt lgkmcnt(0)
	global_store_b32 v[0:1], v2, off
.LBB7_34:
	s_nop 0
	s_sendmsg sendmsg(MSG_DEALLOC_VGPRS)
	s_endpgm
	.section	.rodata,"a",@progbits
	.p2align	6, 0x0
	.amdhsa_kernel _Z26selective_scan_vllm_kernelI18SSMFwdKernelTraitsILi128ELi4ELi8ELb0ELb0ELb1EEEv13SSMParamsBase
		.amdhsa_group_segment_fixed_size 0
		.amdhsa_private_segment_fixed_size 48
		.amdhsa_kernarg_size 144
		.amdhsa_user_sgpr_count 14
		.amdhsa_user_sgpr_dispatch_ptr 0
		.amdhsa_user_sgpr_queue_ptr 0
		.amdhsa_user_sgpr_kernarg_segment_ptr 1
		.amdhsa_user_sgpr_dispatch_id 0
		.amdhsa_user_sgpr_private_segment_size 0
		.amdhsa_wavefront_size32 1
		.amdhsa_uses_dynamic_stack 0
		.amdhsa_enable_private_segment 1
		.amdhsa_system_sgpr_workgroup_id_x 1
		.amdhsa_system_sgpr_workgroup_id_y 1
		.amdhsa_system_sgpr_workgroup_id_z 0
		.amdhsa_system_sgpr_workgroup_info 0
		.amdhsa_system_vgpr_workitem_id 0
		.amdhsa_next_free_vgpr 43
		.amdhsa_next_free_sgpr 54
		.amdhsa_reserve_vcc 1
		.amdhsa_float_round_mode_32 0
		.amdhsa_float_round_mode_16_64 0
		.amdhsa_float_denorm_mode_32 3
		.amdhsa_float_denorm_mode_16_64 3
		.amdhsa_dx10_clamp 1
		.amdhsa_ieee_mode 1
		.amdhsa_fp16_overflow 0
		.amdhsa_workgroup_processor_mode 1
		.amdhsa_memory_ordered 1
		.amdhsa_forward_progress 0
		.amdhsa_shared_vgpr_count 0
		.amdhsa_exception_fp_ieee_invalid_op 0
		.amdhsa_exception_fp_denorm_src 0
		.amdhsa_exception_fp_ieee_div_zero 0
		.amdhsa_exception_fp_ieee_overflow 0
		.amdhsa_exception_fp_ieee_underflow 0
		.amdhsa_exception_fp_ieee_inexact 0
		.amdhsa_exception_int_div_zero 0
	.end_amdhsa_kernel
	.section	.text._Z26selective_scan_vllm_kernelI18SSMFwdKernelTraitsILi128ELi4ELi8ELb0ELb0ELb1EEEv13SSMParamsBase,"axG",@progbits,_Z26selective_scan_vllm_kernelI18SSMFwdKernelTraitsILi128ELi4ELi8ELb0ELb0ELb1EEEv13SSMParamsBase,comdat
.Lfunc_end7:
	.size	_Z26selective_scan_vllm_kernelI18SSMFwdKernelTraitsILi128ELi4ELi8ELb0ELb0ELb1EEEv13SSMParamsBase, .Lfunc_end7-_Z26selective_scan_vllm_kernelI18SSMFwdKernelTraitsILi128ELi4ELi8ELb0ELb0ELb1EEEv13SSMParamsBase
                                        ; -- End function
	.section	.AMDGPU.csdata,"",@progbits
; Kernel info:
; codeLenInByte = 2396
; NumSgprs: 56
; NumVgprs: 43
; ScratchSize: 48
; MemoryBound: 0
; FloatMode: 240
; IeeeMode: 1
; LDSByteSize: 0 bytes/workgroup (compile time only)
; SGPRBlocks: 6
; VGPRBlocks: 5
; NumSGPRsForWavesPerEU: 56
; NumVGPRsForWavesPerEU: 43
; Occupancy: 16
; WaveLimiterHint : 0
; COMPUTE_PGM_RSRC2:SCRATCH_EN: 1
; COMPUTE_PGM_RSRC2:USER_SGPR: 14
; COMPUTE_PGM_RSRC2:TRAP_HANDLER: 0
; COMPUTE_PGM_RSRC2:TGID_X_EN: 1
; COMPUTE_PGM_RSRC2:TGID_Y_EN: 1
; COMPUTE_PGM_RSRC2:TGID_Z_EN: 0
; COMPUTE_PGM_RSRC2:TIDIG_COMP_CNT: 0
	.section	.text._Z26selective_scan_vllm_kernelI18SSMFwdKernelTraitsILi128ELi4ELi8ELb0ELb0ELb0EEEv13SSMParamsBase,"axG",@progbits,_Z26selective_scan_vllm_kernelI18SSMFwdKernelTraitsILi128ELi4ELi8ELb0ELb0ELb0EEEv13SSMParamsBase,comdat
	.protected	_Z26selective_scan_vllm_kernelI18SSMFwdKernelTraitsILi128ELi4ELi8ELb0ELb0ELb0EEEv13SSMParamsBase ; -- Begin function _Z26selective_scan_vllm_kernelI18SSMFwdKernelTraitsILi128ELi4ELi8ELb0ELb0ELb0EEEv13SSMParamsBase
	.globl	_Z26selective_scan_vllm_kernelI18SSMFwdKernelTraitsILi128ELi4ELi8ELb0ELb0ELb0EEEv13SSMParamsBase
	.p2align	8
	.type	_Z26selective_scan_vllm_kernelI18SSMFwdKernelTraitsILi128ELi4ELi8ELb0ELb0ELb0EEEv13SSMParamsBase,@function
_Z26selective_scan_vllm_kernelI18SSMFwdKernelTraitsILi128ELi4ELi8ELb0ELb0ELb0EEEv13SSMParamsBase: ; @_Z26selective_scan_vllm_kernelI18SSMFwdKernelTraitsILi128ELi4ELi8ELb0ELb0ELb0EEEv13SSMParamsBase
; %bb.0:
	s_clause 0x5
	s_load_b64 s[6:7], s[0:1], 0x4
	s_load_b128 s[36:39], s[0:1], 0x38
	s_load_b64 s[8:9], s[0:1], 0x48
	s_load_b64 s[44:45], s[0:1], 0x88
	s_load_b128 s[40:43], s[0:1], 0x78
	s_load_b256 s[16:23], s[0:1], 0x18
	s_abs_i32 s12, s14
	s_ashr_i32 s11, s14, 31
	s_waitcnt lgkmcnt(0)
	s_abs_i32 s4, s6
	s_ashr_i32 s13, s6, 31
	v_cvt_f32_u32_e32 v1, s4
	s_sub_i32 s2, 0, s4
	s_delay_alu instid0(VALU_DEP_1) | instskip(SKIP_2) | instid1(VALU_DEP_1)
	v_rcp_iflag_f32_e32 v1, v1
	s_waitcnt_depctr 0xfff
	v_mul_f32_e32 v1, 0x4f7ffffe, v1
	v_cvt_u32_f32_e32 v1, v1
	s_delay_alu instid0(VALU_DEP_1) | instskip(NEXT) | instid1(VALU_DEP_1)
	v_readfirstlane_b32 s5, v1
	s_mul_i32 s3, s2, s5
	v_cmp_ne_u32_e64 s2, 0, v0
	s_mul_hi_u32 s10, s5, s3
	v_cmp_eq_u32_e64 s3, 0, v0
	s_add_i32 s5, s5, s10
	s_delay_alu instid0(SALU_CYCLE_1) | instskip(SKIP_1) | instid1(VALU_DEP_1)
	s_mul_hi_u32 s10, s12, s5
	s_lshl_b32 s5, s15, 9
	s_and_saveexec_b32 s24, s3
	s_cbranch_execz .LBB8_2
; %bb.1:
	s_add_i32 s25, s5, 0x200
	s_not_b32 s26, s5
	s_min_i32 s25, s25, s7
	v_mov_b32_e32 v3, 0
	s_add_i32 s25, s25, s26
	s_delay_alu instid0(SALU_CYCLE_1) | instskip(NEXT) | instid1(SALU_CYCLE_1)
	s_ashr_i32 s26, s25, 31
	s_lshr_b32 s26, s26, 30
	s_delay_alu instid0(SALU_CYCLE_1) | instskip(NEXT) | instid1(SALU_CYCLE_1)
	s_add_i32 s26, s25, s26
	s_and_b32 s27, s26, -4
	s_ashr_i32 s26, s26, 2
	s_sub_i32 s25, s25, s27
	s_delay_alu instid0(SALU_CYCLE_1)
	v_dual_mov_b32 v1, s26 :: v_dual_mov_b32 v2, s25
	ds_store_b64 v3, v[1:2] offset:36960
.LBB8_2:
	s_or_b32 exec_lo, exec_lo, s24
	s_mul_i32 s24, s10, s4
	s_xor_b32 s11, s11, s13
	s_sub_i32 s12, s12, s24
	s_add_i32 s13, s10, 1
	s_sub_i32 s24, s12, s4
	s_cmp_ge_u32 s12, s4
	v_dual_mov_b32 v4, 0 :: v_dual_lshlrev_b32 v3, 2, v0
	s_cselect_b32 s10, s13, s10
	s_cselect_b32 s12, s24, s12
	s_add_i32 s13, s10, 1
	s_cmp_ge_u32 s12, s4
	s_waitcnt lgkmcnt(0)
	s_cselect_b32 s4, s13, s10
	s_barrier
	s_xor_b32 s4, s4, s11
	buffer_gl0_inv
	s_sub_i32 s49, s4, s11
	ds_load_b64 v[1:2], v4 offset:36960
	s_mul_i32 s10, s49, s40
	s_mul_i32 s4, s49, s6
	s_ashr_i32 s11, s10, 31
	s_sub_i32 s46, s14, s4
	s_lshl_b64 s[34:35], s[10:11], 2
	s_mul_i32 s10, s46, s41
	s_add_u32 s4, s16, s34
	s_addc_u32 s6, s17, s35
	s_ashr_i32 s11, s10, 31
	v_add_nc_u32_e32 v9, s5, v3
	s_lshl_b64 s[40:41], s[10:11], 2
	v_mov_b32_e32 v5, 0
	s_add_u32 s16, s4, s40
	s_addc_u32 s17, s6, s41
	s_ashr_i32 s47, s46, 31
	v_cmp_gt_i32_e64 s4, s7, v9
	s_lshl_b64 s[10:11], s[46:47], 2
	v_ashrrev_i32_e32 v10, 31, v9
	s_add_u32 s8, s8, s10
	s_addc_u32 s9, s9, s11
	s_and_saveexec_b32 s5, s4
	s_cbranch_execz .LBB8_4
; %bb.3:
	v_lshlrev_b64 v[5:6], 2, v[9:10]
	s_delay_alu instid0(VALU_DEP_1) | instskip(NEXT) | instid1(VALU_DEP_2)
	v_add_co_u32 v5, vcc_lo, s16, v5
	v_add_co_ci_u32_e32 v6, vcc_lo, s17, v6, vcc_lo
	global_load_b32 v5, v[5:6], off
.LBB8_4:
	s_or_b32 exec_lo, exec_lo, s5
	s_load_b32 s9, s[8:9], 0x0
	s_add_u32 s5, s18, s34
	s_addc_u32 s6, s19, s35
	s_add_u32 s12, s5, s40
	s_addc_u32 s13, s6, s41
	s_and_saveexec_b32 s5, s4
	s_cbranch_execz .LBB8_6
; %bb.5:
	v_lshlrev_b64 v[6:7], 2, v[9:10]
	s_delay_alu instid0(VALU_DEP_1) | instskip(NEXT) | instid1(VALU_DEP_2)
	v_add_co_u32 v6, vcc_lo, s12, v6
	v_add_co_ci_u32_e32 v7, vcc_lo, s13, v7, vcc_lo
	global_load_b32 v4, v[6:7], off
.LBB8_6:
	s_or_b32 exec_lo, exec_lo, s5
	v_lshl_add_u32 v17, v3, 2, 0
	v_or_b32_e32 v6, 1, v9
	s_waitcnt vmcnt(0) lgkmcnt(0)
	v_dual_add_f32 v7, s9, v4 :: v_dual_mov_b32 v4, 0
	s_delay_alu instid0(VALU_DEP_3) | instskip(NEXT) | instid1(VALU_DEP_3)
	v_add_nc_u32_e32 v8, 32, v17
	v_cmp_gt_i32_e64 s5, s7, v6
	v_mov_b32_e32 v6, 0
	ds_store_2addr_stride64_b32 v8, v5, v7 offset1:8
	s_and_saveexec_b32 s6, s5
	s_cbranch_execz .LBB8_8
; %bb.7:
	v_lshlrev_b64 v[4:5], 2, v[9:10]
	s_delay_alu instid0(VALU_DEP_1) | instskip(NEXT) | instid1(VALU_DEP_2)
	v_add_co_u32 v4, vcc_lo, s16, v4
	v_add_co_ci_u32_e32 v5, vcc_lo, s17, v5, vcc_lo
	global_load_b32 v4, v[4:5], off offset:4
.LBB8_8:
	s_or_b32 exec_lo, exec_lo, s6
	s_and_saveexec_b32 s6, s5
	s_cbranch_execz .LBB8_10
; %bb.9:
	v_lshlrev_b64 v[5:6], 2, v[9:10]
	s_delay_alu instid0(VALU_DEP_1) | instskip(NEXT) | instid1(VALU_DEP_2)
	v_add_co_u32 v5, vcc_lo, s12, v5
	v_add_co_ci_u32_e32 v6, vcc_lo, s13, v6, vcc_lo
	global_load_b32 v6, v[5:6], off offset:4
.LBB8_10:
	s_or_b32 exec_lo, exec_lo, s6
	s_waitcnt vmcnt(0)
	v_dual_add_f32 v6, s9, v6 :: v_dual_lshlrev_b32 v7, 2, v3
	v_or_b32_e32 v8, 2, v9
	v_mov_b32_e32 v3, 0
	v_mov_b32_e32 v5, 0
	s_delay_alu instid0(VALU_DEP_4)
	v_add3_u32 v18, 0, 32, v7
	v_add3_u32 v19, 0, 0x820, v7
	v_cmp_gt_i32_e64 s6, s7, v8
	ds_store_b32 v18, v4 offset:4
	ds_store_b32 v19, v6 offset:4
	s_and_saveexec_b32 s8, s6
	s_cbranch_execz .LBB8_12
; %bb.11:
	v_lshlrev_b64 v[4:5], 2, v[9:10]
	s_delay_alu instid0(VALU_DEP_1) | instskip(NEXT) | instid1(VALU_DEP_2)
	v_add_co_u32 v4, vcc_lo, s16, v4
	v_add_co_ci_u32_e32 v5, vcc_lo, s17, v5, vcc_lo
	global_load_b32 v5, v[4:5], off offset:8
.LBB8_12:
	s_or_b32 exec_lo, exec_lo, s8
	s_and_saveexec_b32 s8, s6
	s_cbranch_execz .LBB8_14
; %bb.13:
	v_lshlrev_b64 v[3:4], 2, v[9:10]
	s_delay_alu instid0(VALU_DEP_1) | instskip(NEXT) | instid1(VALU_DEP_2)
	v_add_co_u32 v3, vcc_lo, s12, v3
	v_add_co_ci_u32_e32 v4, vcc_lo, s13, v4, vcc_lo
	global_load_b32 v3, v[3:4], off offset:8
.LBB8_14:
	s_or_b32 exec_lo, exec_lo, s8
	v_or_b32_e32 v4, 3, v9
	s_waitcnt vmcnt(0)
	v_dual_add_f32 v6, s9, v3 :: v_dual_mov_b32 v3, 0
	ds_store_b32 v18, v5 offset:8
	ds_store_b32 v19, v6 offset:8
	v_cmp_le_i32_e32 vcc_lo, s7, v4
	v_cmp_gt_i32_e64 s7, s7, v4
	s_delay_alu instid0(VALU_DEP_1)
	s_and_saveexec_b32 s18, s7
	s_cbranch_execz .LBB8_16
; %bb.15:
	v_lshlrev_b64 v[3:4], 2, v[9:10]
	s_delay_alu instid0(VALU_DEP_1) | instskip(NEXT) | instid1(VALU_DEP_1)
	v_add_co_u32 v3, s8, s16, v3
	v_add_co_ci_u32_e64 v4, s8, s17, v4, s8
	global_load_b32 v3, v[3:4], off offset:12
.LBB8_16:
	s_or_b32 exec_lo, exec_lo, s18
                                        ; implicit-def: $sgpr16
	s_and_saveexec_b32 s8, vcc_lo
	s_delay_alu instid0(SALU_CYCLE_1)
	s_xor_b32 s8, exec_lo, s8
; %bb.17:
	s_mov_b32 s16, 0
; %bb.18:
	s_or_saveexec_b32 s8, s8
	s_clause 0x1
	s_load_b32 s33, s[0:1], 0x10
	s_load_b256 s[24:31], s[0:1], 0x58
	v_mov_b32_e32 v4, s16
	s_xor_b32 exec_lo, exec_lo, s8
	s_cbranch_execz .LBB8_20
; %bb.19:
	v_lshlrev_b64 v[4:5], 2, v[9:10]
	s_delay_alu instid0(VALU_DEP_1) | instskip(NEXT) | instid1(VALU_DEP_2)
	v_add_co_u32 v4, vcc_lo, s12, v4
	v_add_co_ci_u32_e32 v5, vcc_lo, s13, v5, vcc_lo
	global_load_b32 v4, v[4:5], off offset:12
.LBB8_20:
	s_or_b32 exec_lo, exec_lo, s8
	v_mbcnt_lo_u32_b32 v7, -1, 0
	s_waitcnt vmcnt(0)
	v_add_f32_e32 v4, s9, v4
	s_add_u32 s0, s38, s10
	s_addc_u32 s1, s39, s11
	s_lshl_b32 s38, s46, 3
	v_add_nc_u32_e32 v13, -1, v7
	ds_store_b32 v18, v3 offset:12
	ds_store_b32 v19, v4 offset:12
	s_waitcnt lgkmcnt(0)
	s_barrier
	buffer_gl0_inv
	s_load_b32 s9, s[0:1], 0x0
	ds_load_2addr_b32 v[3:4], v17 offset0:8 offset1:9
	ds_load_2addr_b32 v[5:6], v18 offset0:2 offset1:3
	s_mul_i32 s47, s49, s42
	v_cmp_gt_i32_e32 vcc_lo, 0, v13
	s_cmp_lg_u32 s15, 0
	s_mul_i32 s49, s49, s44
	s_mul_i32 s42, s46, s45
	s_cselect_b32 s46, -1, 0
	s_add_i32 s42, s42, s49
	s_ashr_i32 s49, s15, 31
	s_add_u32 s50, s28, -4
	s_addc_u32 s51, s29, -1
	s_add_u32 s52, s30, -4
	s_addc_u32 s53, s31, -1
	s_add_u32 s54, s22, 4
	s_addc_u32 s55, s23, 0
	s_add_u32 s56, s36, 4
	s_addc_u32 s57, s37, 0
	;; [unrolled: 2-line block ×3, first 2 shown]
	s_waitcnt lgkmcnt(0)
	v_dual_mul_f32 v23, s9, v3 :: v_dual_mul_f32 v22, s9, v4
	v_dual_mul_f32 v20, s9, v6 :: v_dual_cndmask_b32 v3, v13, v7
	v_lshrrev_b32_e32 v4, 2, v0
	s_add_u32 s60, s36, 8
	s_addc_u32 s61, s37, 0
	v_dual_mul_f32 v21, s9, v5 :: v_dual_and_b32 v8, 15, v7
	v_lshlrev_b32_e32 v24, 2, v3
	v_dual_mov_b32 v30, 0 :: v_dual_and_b32 v3, 24, v4
	v_or_b32_e32 v11, 31, v0
	v_and_b32_e32 v12, 16, v7
	v_and_b32_e32 v4, 3, v7
	s_delay_alu instid0(VALU_DEP_4)
	v_add_nc_u32_e32 v25, 0, v3
	v_lshlrev_b32_e32 v2, 3, v2
	v_cmp_eq_u32_e64 s18, v0, v1
	v_lshlrev_b32_e32 v1, 4, v0
	s_add_u32 s62, s22, 12
	s_addc_u32 s63, s23, 0
	s_add_u32 s64, s36, 12
	s_addc_u32 s65, s37, 0
	s_ashr_i32 s39, s38, 31
	s_mul_i32 s14, s14, s33
	v_cmp_ne_u32_e64 s0, 0, v8
	v_cmp_lt_u32_e64 s1, 1, v8
	v_cmp_lt_u32_e64 s8, 3, v8
	;; [unrolled: 1-line block ×3, first 2 shown]
	v_cmp_ne_u32_e64 s10, 0, v12
	v_cmp_eq_u32_e64 s11, v11, v0
	v_cmp_gt_u32_e64 s12, 4, v0
	v_cmp_lt_u32_e64 s13, 31, v0
	v_lshl_add_u32 v26, v0, 3, 0
	v_cmp_ne_u32_e64 s19, 0, v4
	v_cmp_lt_u32_e64 s16, 1, v4
	v_add_nc_u32_e32 v27, -8, v25
	v_cmp_eq_u32_e64 s17, 0, v7
	v_add_nc_u32_e32 v28, 0, v2
	v_add3_u32 v29, v1, 0, 0x1020
	s_lshl_b64 s[38:39], s[38:39], 2
	v_add_nc_u32_e32 v31, 0x820, v17
	s_lshl_b32 s14, s14, 3
	s_add_u32 s20, s20, s38
	s_mov_b32 s48, 0
	s_addc_u32 s21, s21, s39
	s_mov_b32 s38, s42
	s_branch .LBB8_22
.LBB8_21:                               ;   in Loop: Header=BB8_22 Depth=1
	s_or_b32 exec_lo, exec_lo, s44
	s_waitcnt vmcnt(1)
	v_fma_f32 v1, v12, v1, v2
	v_fmac_f32_e32 v4, v12, v3
	s_waitcnt vmcnt(0)
	v_fma_f32 v2, v12, v5, v6
	v_fmac_f32_e32 v8, v12, v7
	s_add_i32 s48, s48, 4
	s_waitcnt lgkmcnt(1)
	v_dual_fmac_f32 v23, v15, v1 :: v_dual_fmac_f32 v22, v16, v4
	v_add_nc_u32_e32 v29, 0x800, v29
	s_waitcnt lgkmcnt(0)
	v_dual_fmac_f32 v21, v13, v2 :: v_dual_fmac_f32 v20, v14, v8
	s_add_i32 s47, s47, s43
	s_add_i32 s38, s38, 1
	;; [unrolled: 1-line block ×3, first 2 shown]
	s_add_u32 s20, s20, 4
	s_addc_u32 s21, s21, 0
	s_cmp_eq_u32 s48, 32
	s_waitcnt_vscnt null, 0x0
	s_barrier
	buffer_gl0_inv
	s_cbranch_scc1 .LBB8_66
.LBB8_22:                               ; =>This Inner Loop Header: Depth=1
	s_and_saveexec_b32 s66, s3
	s_cbranch_execz .LBB8_27
; %bb.23:                               ;   in Loop: Header=BB8_22 Depth=1
	s_and_b32 vcc_lo, exec_lo, s46
	s_cbranch_vccz .LBB8_65
; %bb.24:                               ;   in Loop: Header=BB8_22 Depth=1
	s_ashr_i32 s39, s14, 31
	s_add_u32 s44, s15, s14
	s_addc_u32 s45, s49, s39
	s_delay_alu instid0(SALU_CYCLE_1) | instskip(NEXT) | instid1(SALU_CYCLE_1)
	s_lshl_b64 s[44:45], s[44:45], 2
	s_add_u32 s68, s50, s44
	s_addc_u32 s69, s51, s45
	s_add_u32 s44, s52, s44
	global_load_b32 v1, v30, s[68:69]
	s_addc_u32 s45, s53, s45
	s_cbranch_execnz .LBB8_26
.LBB8_25:                               ;   in Loop: Header=BB8_22 Depth=1
	s_ashr_i32 s39, s38, 31
	s_waitcnt vmcnt(0)
	v_mov_b32_e32 v1, 1.0
	s_lshl_b64 s[44:45], s[38:39], 2
	s_delay_alu instid0(SALU_CYCLE_1)
	s_add_u32 s44, s24, s44
	s_addc_u32 s45, s25, s45
.LBB8_26:                               ;   in Loop: Header=BB8_22 Depth=1
	global_load_b32 v2, v30, s[44:45]
	s_add_i32 s39, s48, 0
	s_delay_alu instid0(SALU_CYCLE_1)
	v_add_nc_u32_e64 v3, 0x9000, s39
	s_waitcnt vmcnt(0)
	ds_store_2addr_b32 v3, v1, v2 offset0:8 offset1:16
.LBB8_27:                               ;   in Loop: Header=BB8_22 Depth=1
	s_or_b32 exec_lo, exec_lo, s66
	v_dual_mov_b32 v4, 0 :: v_dual_add_nc_u32 v1, s47, v9
	v_mov_b32_e32 v3, 0
	s_delay_alu instid0(VALU_DEP_2)
	v_ashrrev_i32_e32 v2, 31, v1
	s_and_saveexec_b32 s39, s4
	s_cbranch_execz .LBB8_29
; %bb.28:                               ;   in Loop: Header=BB8_22 Depth=1
	s_delay_alu instid0(VALU_DEP_1) | instskip(NEXT) | instid1(VALU_DEP_1)
	v_lshlrev_b64 v[4:5], 2, v[1:2]
	v_add_co_u32 v4, vcc_lo, s22, v4
	s_delay_alu instid0(VALU_DEP_2)
	v_add_co_ci_u32_e32 v5, vcc_lo, s23, v5, vcc_lo
	global_load_b32 v4, v[4:5], off
.LBB8_29:                               ;   in Loop: Header=BB8_22 Depth=1
	s_or_b32 exec_lo, exec_lo, s39
	s_waitcnt vmcnt(0)
	ds_store_b32 v29, v4
	s_and_saveexec_b32 s39, s4
	s_cbranch_execz .LBB8_31
; %bb.30:                               ;   in Loop: Header=BB8_22 Depth=1
	v_lshlrev_b64 v[1:2], 2, v[1:2]
	s_delay_alu instid0(VALU_DEP_1) | instskip(NEXT) | instid1(VALU_DEP_2)
	v_add_co_u32 v1, vcc_lo, s36, v1
	v_add_co_ci_u32_e32 v2, vcc_lo, s37, v2, vcc_lo
	global_load_b32 v3, v[1:2], off
.LBB8_31:                               ;   in Loop: Header=BB8_22 Depth=1
	s_or_b32 exec_lo, exec_lo, s39
	v_dual_mov_b32 v1, 0 :: v_dual_mov_b32 v2, 0
	s_waitcnt vmcnt(0)
	ds_store_b32 v29, v3 offset:16384
	s_and_saveexec_b32 s39, s5
	s_cbranch_execz .LBB8_33
; %bb.32:                               ;   in Loop: Header=BB8_22 Depth=1
	s_ashr_i32 s44, s47, 31
	v_add_co_u32 v2, vcc_lo, s47, v9
	v_add_co_ci_u32_e32 v3, vcc_lo, s44, v10, vcc_lo
	s_delay_alu instid0(VALU_DEP_1) | instskip(NEXT) | instid1(VALU_DEP_1)
	v_lshlrev_b64 v[2:3], 2, v[2:3]
	v_add_co_u32 v2, vcc_lo, s54, v2
	s_delay_alu instid0(VALU_DEP_2)
	v_add_co_ci_u32_e32 v3, vcc_lo, s55, v3, vcc_lo
	global_load_b32 v2, v[2:3], off
.LBB8_33:                               ;   in Loop: Header=BB8_22 Depth=1
	s_or_b32 exec_lo, exec_lo, s39
	s_waitcnt vmcnt(0)
	ds_store_b32 v29, v2 offset:4
	s_and_saveexec_b32 s39, s5
	s_cbranch_execz .LBB8_35
; %bb.34:                               ;   in Loop: Header=BB8_22 Depth=1
	s_ashr_i32 s44, s47, 31
	v_add_co_u32 v1, vcc_lo, s47, v9
	v_add_co_ci_u32_e32 v2, vcc_lo, s44, v10, vcc_lo
	s_delay_alu instid0(VALU_DEP_1) | instskip(NEXT) | instid1(VALU_DEP_1)
	v_lshlrev_b64 v[1:2], 2, v[1:2]
	v_add_co_u32 v1, vcc_lo, s56, v1
	s_delay_alu instid0(VALU_DEP_2)
	v_add_co_ci_u32_e32 v2, vcc_lo, s57, v2, vcc_lo
	global_load_b32 v1, v[1:2], off
.LBB8_35:                               ;   in Loop: Header=BB8_22 Depth=1
	s_or_b32 exec_lo, exec_lo, s39
	v_dual_mov_b32 v2, 0 :: v_dual_mov_b32 v3, 0
	s_waitcnt vmcnt(0)
	ds_store_b32 v29, v1 offset:16388
	s_and_saveexec_b32 s39, s6
	s_cbranch_execz .LBB8_37
; %bb.36:                               ;   in Loop: Header=BB8_22 Depth=1
	s_ashr_i32 s44, s47, 31
	v_add_co_u32 v3, vcc_lo, s47, v9
	v_add_co_ci_u32_e32 v4, vcc_lo, s44, v10, vcc_lo
	s_delay_alu instid0(VALU_DEP_1) | instskip(NEXT) | instid1(VALU_DEP_1)
	v_lshlrev_b64 v[3:4], 2, v[3:4]
	v_add_co_u32 v3, vcc_lo, s58, v3
	s_delay_alu instid0(VALU_DEP_2)
	v_add_co_ci_u32_e32 v4, vcc_lo, s59, v4, vcc_lo
	global_load_b32 v3, v[3:4], off
.LBB8_37:                               ;   in Loop: Header=BB8_22 Depth=1
	s_or_b32 exec_lo, exec_lo, s39
	s_waitcnt vmcnt(0)
	ds_store_b32 v29, v3 offset:8
	s_and_saveexec_b32 s39, s6
	s_cbranch_execz .LBB8_39
; %bb.38:                               ;   in Loop: Header=BB8_22 Depth=1
	s_ashr_i32 s44, s47, 31
	v_add_co_u32 v1, vcc_lo, s47, v9
	v_add_co_ci_u32_e32 v2, vcc_lo, s44, v10, vcc_lo
	s_delay_alu instid0(VALU_DEP_1) | instskip(NEXT) | instid1(VALU_DEP_1)
	v_lshlrev_b64 v[1:2], 2, v[1:2]
	v_add_co_u32 v1, vcc_lo, s60, v1
	s_delay_alu instid0(VALU_DEP_2)
	v_add_co_ci_u32_e32 v2, vcc_lo, s61, v2, vcc_lo
	global_load_b32 v2, v[1:2], off
.LBB8_39:                               ;   in Loop: Header=BB8_22 Depth=1
	s_or_b32 exec_lo, exec_lo, s39
	v_mov_b32_e32 v1, 0
	v_mov_b32_e32 v3, 0
	s_waitcnt vmcnt(0)
	ds_store_b32 v29, v2 offset:16392
	s_and_saveexec_b32 s39, s7
	s_cbranch_execz .LBB8_41
; %bb.40:                               ;   in Loop: Header=BB8_22 Depth=1
	s_ashr_i32 s44, s47, 31
	v_add_co_u32 v2, vcc_lo, s47, v9
	v_add_co_ci_u32_e32 v3, vcc_lo, s44, v10, vcc_lo
	s_delay_alu instid0(VALU_DEP_1) | instskip(NEXT) | instid1(VALU_DEP_1)
	v_lshlrev_b64 v[2:3], 2, v[2:3]
	v_add_co_u32 v2, vcc_lo, s62, v2
	s_delay_alu instid0(VALU_DEP_2)
	v_add_co_ci_u32_e32 v3, vcc_lo, s63, v3, vcc_lo
	global_load_b32 v3, v[2:3], off
.LBB8_41:                               ;   in Loop: Header=BB8_22 Depth=1
	s_or_b32 exec_lo, exec_lo, s39
	s_waitcnt vmcnt(0)
	ds_store_b32 v29, v3 offset:12
	s_and_saveexec_b32 s39, s7
	s_cbranch_execz .LBB8_43
; %bb.42:                               ;   in Loop: Header=BB8_22 Depth=1
	s_ashr_i32 s44, s47, 31
	v_add_co_u32 v1, vcc_lo, s47, v9
	v_add_co_ci_u32_e32 v2, vcc_lo, s44, v10, vcc_lo
	s_delay_alu instid0(VALU_DEP_1) | instskip(NEXT) | instid1(VALU_DEP_1)
	v_lshlrev_b64 v[1:2], 2, v[1:2]
	v_add_co_u32 v1, vcc_lo, s64, v1
	s_delay_alu instid0(VALU_DEP_2)
	v_add_co_ci_u32_e32 v2, vcc_lo, s65, v2, vcc_lo
	global_load_b32 v1, v[1:2], off
.LBB8_43:                               ;   in Loop: Header=BB8_22 Depth=1
	s_or_b32 exec_lo, exec_lo, s39
	s_waitcnt vmcnt(0)
	ds_store_b32 v29, v1 offset:16396
	s_waitcnt lgkmcnt(0)
	s_barrier
	buffer_gl0_inv
	global_load_b32 v15, v30, s[20:21]
	ds_load_2addr_b32 v[1:2], v31 offset1:1
	ds_load_2addr_b32 v[3:4], v19 offset0:2 offset1:3
	ds_load_2addr_b32 v[5:6], v29 offset1:1
	ds_load_2addr_b32 v[7:8], v29 offset0:2 offset1:3
	ds_load_2addr_b32 v[11:12], v17 offset0:8 offset1:9
	;; [unrolled: 1-line block ×3, first 2 shown]
	s_add_i32 s39, s48, 0
	s_delay_alu instid0(SALU_CYCLE_1)
	v_add_nc_u32_e64 v34, 0x9000, s39
	s_waitcnt lgkmcnt(3)
	v_dual_mul_f32 v6, v2, v6 :: v_dual_mul_f32 v5, v1, v5
	s_waitcnt vmcnt(0)
	v_mul_f32_e32 v32, v2, v15
	v_mul_f32_e32 v33, v3, v15
	;; [unrolled: 1-line block ×4, first 2 shown]
	s_waitcnt lgkmcnt(2)
	v_dual_mul_f32 v3, v3, v7 :: v_dual_mul_f32 v32, 0x3fb8aa3b, v32
	s_delay_alu instid0(VALU_DEP_3) | instskip(SKIP_2) | instid1(VALU_DEP_3)
	v_dual_mul_f32 v35, 0x3fb8aa3b, v33 :: v_dual_mul_f32 v16, 0x3fb8aa3b, v16
	s_waitcnt lgkmcnt(1)
	v_dual_mul_f32 v2, v11, v5 :: v_dual_mul_f32 v5, 0x3fb8aa3b, v15
	v_exp_f32_e32 v33, v32
	s_delay_alu instid0(VALU_DEP_2)
	v_exp_f32_e32 v35, v35
	v_exp_f32_e32 v1, v16
	s_waitcnt lgkmcnt(0)
	v_dual_mul_f32 v15, v12, v6 :: v_dual_mul_f32 v16, v13, v3
	v_mul_f32_e32 v6, v4, v8
	v_exp_f32_e32 v32, v5
	ds_load_2addr_b32 v[11:12], v34 offset0:8 offset1:16
	v_fma_f32 v4, v2, v33, v15
	v_dual_mul_f32 v3, v1, v33 :: v_dual_mul_f32 v34, v14, v6
	s_delay_alu instid0(VALU_DEP_2) | instskip(NEXT) | instid1(VALU_DEP_2)
	v_fma_f32 v6, v4, v35, v16
	v_mul_f32_e32 v5, v3, v35
	s_delay_alu instid0(VALU_DEP_2) | instskip(NEXT) | instid1(VALU_DEP_1)
	v_fma_f32 v8, v6, v32, v34
	v_dual_mul_f32 v7, v5, v32 :: v_dual_mov_b32 v36, v8
	v_mov_b32_dpp v39, v8 row_shr:1 row_mask:0xf bank_mask:0xf
	s_delay_alu instid0(VALU_DEP_2)
	v_mov_b32_dpp v38, v7 row_shr:1 row_mask:0xf bank_mask:0xf
	v_dual_mov_b32 v37, v7 :: v_dual_mov_b32 v14, v8
	v_mov_b32_e32 v13, v7
	s_and_saveexec_b32 s44, s0
; %bb.44:                               ;   in Loop: Header=BB8_22 Depth=1
	s_delay_alu instid0(VALU_DEP_3) | instskip(NEXT) | instid1(VALU_DEP_1)
	v_dual_mov_b32 v36, v8 :: v_dual_mul_f32 v37, v7, v38
	v_dual_fmac_f32 v36, v7, v39 :: v_dual_mov_b32 v13, v37
	s_delay_alu instid0(VALU_DEP_1)
	v_mov_b32_e32 v14, v36
; %bb.45:                               ;   in Loop: Header=BB8_22 Depth=1
	s_or_b32 exec_lo, exec_lo, s44
	s_delay_alu instid0(VALU_DEP_2) | instskip(NEXT) | instid1(VALU_DEP_2)
	v_mov_b32_dpp v38, v13 row_shr:2 row_mask:0xf bank_mask:0xf
	v_mov_b32_dpp v39, v14 row_shr:2 row_mask:0xf bank_mask:0xf
	s_and_saveexec_b32 s44, s1
; %bb.46:                               ;   in Loop: Header=BB8_22 Depth=1
	s_delay_alu instid0(VALU_DEP_1) | instskip(NEXT) | instid1(VALU_DEP_1)
	v_fmac_f32_e32 v36, v37, v39
	v_dual_mul_f32 v13, v37, v38 :: v_dual_mov_b32 v14, v36
	s_delay_alu instid0(VALU_DEP_1)
	v_mov_b32_e32 v37, v13
; %bb.47:                               ;   in Loop: Header=BB8_22 Depth=1
	s_or_b32 exec_lo, exec_lo, s44
	v_mov_b32_dpp v38, v13 row_shr:4 row_mask:0xf bank_mask:0xf
	s_delay_alu instid0(VALU_DEP_3)
	v_mov_b32_dpp v39, v14 row_shr:4 row_mask:0xf bank_mask:0xf
	s_and_saveexec_b32 s44, s8
; %bb.48:                               ;   in Loop: Header=BB8_22 Depth=1
	s_delay_alu instid0(VALU_DEP_1) | instskip(NEXT) | instid1(VALU_DEP_1)
	v_fmac_f32_e32 v36, v37, v39
	v_dual_mul_f32 v13, v37, v38 :: v_dual_mov_b32 v14, v36
	s_delay_alu instid0(VALU_DEP_1)
	v_mov_b32_e32 v37, v13
; %bb.49:                               ;   in Loop: Header=BB8_22 Depth=1
	s_or_b32 exec_lo, exec_lo, s44
	v_mov_b32_dpp v38, v13 row_shr:8 row_mask:0xf bank_mask:0xf
	s_delay_alu instid0(VALU_DEP_3)
	v_mov_b32_dpp v39, v14 row_shr:8 row_mask:0xf bank_mask:0xf
	s_and_saveexec_b32 s44, s9
; %bb.50:                               ;   in Loop: Header=BB8_22 Depth=1
	s_delay_alu instid0(VALU_DEP_1) | instskip(NEXT) | instid1(VALU_DEP_1)
	v_fmac_f32_e32 v36, v37, v39
	v_dual_mul_f32 v13, v37, v38 :: v_dual_mov_b32 v14, v36
	s_delay_alu instid0(VALU_DEP_1)
	v_mov_b32_e32 v37, v13
; %bb.51:                               ;   in Loop: Header=BB8_22 Depth=1
	s_or_b32 exec_lo, exec_lo, s44
	ds_swizzle_b32 v38, v13 offset:swizzle(BROADCAST,32,15)
	ds_swizzle_b32 v39, v14 offset:swizzle(BROADCAST,32,15)
	s_and_saveexec_b32 s44, s10
	s_cbranch_execz .LBB8_53
; %bb.52:                               ;   in Loop: Header=BB8_22 Depth=1
	s_waitcnt lgkmcnt(0)
	v_fmac_f32_e32 v36, v37, v39
	s_delay_alu instid0(VALU_DEP_1) | instskip(NEXT) | instid1(VALU_DEP_1)
	v_dual_mul_f32 v37, v37, v38 :: v_dual_mov_b32 v14, v36
	v_mov_b32_e32 v13, v37
.LBB8_53:                               ;   in Loop: Header=BB8_22 Depth=1
	s_or_b32 exec_lo, exec_lo, s44
	s_and_saveexec_b32 s44, s11
	s_cbranch_execz .LBB8_55
; %bb.54:                               ;   in Loop: Header=BB8_22 Depth=1
	ds_store_2addr_b32 v25, v13, v14 offset1:1
.LBB8_55:                               ;   in Loop: Header=BB8_22 Depth=1
	s_or_b32 exec_lo, exec_lo, s44
	s_waitcnt lgkmcnt(0)
	s_barrier
	buffer_gl0_inv
	s_and_saveexec_b32 s44, s12
	s_cbranch_execz .LBB8_59
; %bb.56:                               ;   in Loop: Header=BB8_22 Depth=1
	ds_load_2addr_b32 v[13:14], v26 offset1:1
	s_waitcnt lgkmcnt(0)
	v_mov_b32_dpp v38, v13 row_shr:1 row_mask:0xf bank_mask:0xf
	v_mov_b32_dpp v39, v14 row_shr:1 row_mask:0xf bank_mask:0xf
	s_and_saveexec_b32 s45, s19
; %bb.57:                               ;   in Loop: Header=BB8_22 Depth=1
	s_delay_alu instid0(VALU_DEP_1) | instskip(NEXT) | instid1(VALU_DEP_3)
	v_fma_f32 v14, v13, v39, v14
	v_mul_f32_e32 v13, v13, v38
; %bb.58:                               ;   in Loop: Header=BB8_22 Depth=1
	s_or_b32 exec_lo, exec_lo, s45
	s_delay_alu instid0(VALU_DEP_1) | instskip(NEXT) | instid1(VALU_DEP_3)
	v_mov_b32_dpp v38, v13 row_shr:2 row_mask:0xf bank_mask:0xf
	v_mov_b32_dpp v39, v14 row_shr:2 row_mask:0xf bank_mask:0xf
	s_delay_alu instid0(VALU_DEP_2) | instskip(NEXT) | instid1(VALU_DEP_2)
	v_mul_f32_e32 v38, v13, v38
	v_fma_f32 v39, v13, v39, v14
	s_delay_alu instid0(VALU_DEP_2) | instskip(NEXT) | instid1(VALU_DEP_2)
	v_cndmask_b32_e64 v13, v13, v38, s16
	v_cndmask_b32_e64 v14, v14, v39, s16
	ds_store_2addr_b32 v26, v13, v14 offset1:1
.LBB8_59:                               ;   in Loop: Header=BB8_22 Depth=1
	s_or_b32 exec_lo, exec_lo, s44
	s_waitcnt lgkmcnt(0)
	s_barrier
	buffer_gl0_inv
                                        ; implicit-def: $vgpr14
	s_and_saveexec_b32 s44, s13
	s_cbranch_execz .LBB8_61
; %bb.60:                               ;   in Loop: Header=BB8_22 Depth=1
	ds_load_2addr_b32 v[13:14], v27 offset1:1
	s_waitcnt lgkmcnt(0)
	v_mul_f32_e32 v38, v37, v13
	s_delay_alu instid0(VALU_DEP_1)
	v_dual_fmac_f32 v36, v37, v14 :: v_dual_mov_b32 v37, v38
.LBB8_61:                               ;   in Loop: Header=BB8_22 Depth=1
	s_or_b32 exec_lo, exec_lo, s44
	ds_bpermute_b32 v37, v24, v37
	ds_bpermute_b32 v36, v24, v36
	s_and_saveexec_b32 s44, s2
	s_cbranch_execz .LBB8_63
; %bb.62:                               ;   in Loop: Header=BB8_22 Depth=1
	s_waitcnt lgkmcnt(0)
	v_cndmask_b32_e64 v3, v36, v14, s17
	v_cndmask_b32_e64 v4, v37, v13, s17
	;;#ASMSTART
	;;#ASMEND
	s_delay_alu instid0(VALU_DEP_2) | instskip(NEXT) | instid1(VALU_DEP_1)
	v_fmac_f32_e32 v2, v1, v3
	v_fmac_f32_e32 v15, v2, v33
	s_delay_alu instid0(VALU_DEP_1) | instskip(NEXT) | instid1(VALU_DEP_1)
	v_dual_mul_f32 v1, v1, v4 :: v_dual_fmac_f32 v16, v15, v35
	v_dual_fmac_f32 v34, v16, v32 :: v_dual_mul_f32 v3, v1, v33
	v_mov_b32_e32 v4, v15
	v_mov_b32_e32 v6, v16
	s_delay_alu instid0(VALU_DEP_3) | instskip(NEXT) | instid1(VALU_DEP_1)
	v_dual_mov_b32 v8, v34 :: v_dual_mul_f32 v5, v3, v35
	v_mul_f32_e32 v7, v5, v32
.LBB8_63:                               ;   in Loop: Header=BB8_22 Depth=1
	s_or_b32 exec_lo, exec_lo, s44
	s_clause 0x1
	scratch_store_b128 off, v[1:4], off
	scratch_store_b128 off, v[5:8], off offset:16
	s_waitcnt lgkmcnt(0)
	s_waitcnt_vscnt null, 0x0
	s_barrier
	buffer_gl0_inv
	s_clause 0x1
	scratch_load_b128 v[1:4], off, off
	scratch_load_b128 v[5:8], off, off offset:16
	v_add_nc_u32_e32 v13, 0x4000, v29
	v_add_nc_u32_e32 v14, 0x4008, v29
	ds_load_2addr_b32 v[15:16], v13 offset1:1
	ds_load_2addr_b32 v[13:14], v14 offset1:1
	s_and_saveexec_b32 s44, s18
	s_cbranch_execz .LBB8_21
; %bb.64:                               ;   in Loop: Header=BB8_22 Depth=1
	scratch_load_b64 v[32:33], v28, off
	s_add_i32 s66, s15, s14
	v_add_nc_u32_e64 v34, 0x9000, s39
	s_ashr_i32 s67, s66, 31
	s_delay_alu instid0(SALU_CYCLE_1) | instskip(NEXT) | instid1(SALU_CYCLE_1)
	s_lshl_b64 s[66:67], s[66:67], 2
	s_add_u32 s68, s28, s66
	s_addc_u32 s69, s29, s67
	s_add_u32 s66, s30, s66
	s_addc_u32 s67, s31, s67
	s_waitcnt vmcnt(0)
	v_mul_f32_e32 v11, v11, v32
	v_fmac_f32_e32 v33, v12, v32
	s_clause 0x1
	global_store_b32 v30, v11, s[68:69]
	global_store_b32 v30, v33, s[66:67]
	ds_store_2addr_b32 v34, v11, v33 offset0:8 offset1:16
	s_branch .LBB8_21
.LBB8_65:                               ;   in Loop: Header=BB8_22 Depth=1
                                        ; implicit-def: $sgpr44_sgpr45
                                        ; implicit-def: $vgpr1
	s_branch .LBB8_25
.LBB8_66:
	v_lshlrev_b64 v[1:2], 2, v[9:10]
	s_add_u32 s0, s26, s34
	s_addc_u32 s1, s27, s35
	s_add_u32 s0, s0, s40
	s_addc_u32 s1, s1, s41
	s_and_saveexec_b32 s2, s4
	s_cbranch_execnz .LBB8_74
; %bb.67:
	s_or_b32 exec_lo, exec_lo, s2
	s_and_saveexec_b32 s2, s5
	s_cbranch_execnz .LBB8_75
.LBB8_68:
	s_or_b32 exec_lo, exec_lo, s2
	s_and_saveexec_b32 s2, s6
	s_cbranch_execnz .LBB8_76
.LBB8_69:
	s_or_b32 exec_lo, exec_lo, s2
	s_and_saveexec_b32 s2, s7
	s_cbranch_execz .LBB8_71
.LBB8_70:
	v_add_co_u32 v1, vcc_lo, s0, v1
	v_add_co_ci_u32_e32 v2, vcc_lo, s1, v2, vcc_lo
	global_store_b32 v[1:2], v20, off offset:12
.LBB8_71:
	s_or_b32 exec_lo, exec_lo, s2
	s_add_i32 s33, s33, -1
	v_cmp_gt_u32_e32 vcc_lo, 8, v0
	s_cmp_eq_u32 s15, s33
	s_cselect_b32 s0, -1, 0
	s_delay_alu instid0(SALU_CYCLE_1) | instskip(NEXT) | instid1(SALU_CYCLE_1)
	s_and_b32 s0, vcc_lo, s0
	s_and_saveexec_b32 s1, s0
	s_cbranch_execz .LBB8_73
; %bb.72:
	v_lshl_add_u32 v1, v0, 2, 0
	v_add_nc_u32_e32 v0, s42, v0
	ds_load_b32 v2, v1 offset:36928
	v_ashrrev_i32_e32 v1, 31, v0
	s_delay_alu instid0(VALU_DEP_1) | instskip(NEXT) | instid1(VALU_DEP_1)
	v_lshlrev_b64 v[0:1], 2, v[0:1]
	v_add_co_u32 v0, vcc_lo, s24, v0
	s_delay_alu instid0(VALU_DEP_2)
	v_add_co_ci_u32_e32 v1, vcc_lo, s25, v1, vcc_lo
	s_waitcnt lgkmcnt(0)
	global_store_b32 v[0:1], v2, off
.LBB8_73:
	s_nop 0
	s_sendmsg sendmsg(MSG_DEALLOC_VGPRS)
	s_endpgm
.LBB8_74:
	v_add_co_u32 v3, vcc_lo, s0, v1
	v_add_co_ci_u32_e32 v4, vcc_lo, s1, v2, vcc_lo
	global_store_b32 v[3:4], v23, off
	s_or_b32 exec_lo, exec_lo, s2
	s_and_saveexec_b32 s2, s5
	s_cbranch_execz .LBB8_68
.LBB8_75:
	v_add_co_u32 v3, vcc_lo, s0, v1
	v_add_co_ci_u32_e32 v4, vcc_lo, s1, v2, vcc_lo
	global_store_b32 v[3:4], v22, off offset:4
	s_or_b32 exec_lo, exec_lo, s2
	s_and_saveexec_b32 s2, s6
	s_cbranch_execz .LBB8_69
.LBB8_76:
	v_add_co_u32 v3, vcc_lo, s0, v1
	v_add_co_ci_u32_e32 v4, vcc_lo, s1, v2, vcc_lo
	global_store_b32 v[3:4], v21, off offset:8
	s_or_b32 exec_lo, exec_lo, s2
	s_and_saveexec_b32 s2, s7
	s_cbranch_execnz .LBB8_70
	s_branch .LBB8_71
	.section	.rodata,"a",@progbits
	.p2align	6, 0x0
	.amdhsa_kernel _Z26selective_scan_vllm_kernelI18SSMFwdKernelTraitsILi128ELi4ELi8ELb0ELb0ELb0EEEv13SSMParamsBase
		.amdhsa_group_segment_fixed_size 0
		.amdhsa_private_segment_fixed_size 48
		.amdhsa_kernarg_size 144
		.amdhsa_user_sgpr_count 14
		.amdhsa_user_sgpr_dispatch_ptr 0
		.amdhsa_user_sgpr_queue_ptr 0
		.amdhsa_user_sgpr_kernarg_segment_ptr 1
		.amdhsa_user_sgpr_dispatch_id 0
		.amdhsa_user_sgpr_private_segment_size 0
		.amdhsa_wavefront_size32 1
		.amdhsa_uses_dynamic_stack 0
		.amdhsa_enable_private_segment 1
		.amdhsa_system_sgpr_workgroup_id_x 1
		.amdhsa_system_sgpr_workgroup_id_y 1
		.amdhsa_system_sgpr_workgroup_id_z 0
		.amdhsa_system_sgpr_workgroup_info 0
		.amdhsa_system_vgpr_workitem_id 0
		.amdhsa_next_free_vgpr 40
		.amdhsa_next_free_sgpr 70
		.amdhsa_reserve_vcc 1
		.amdhsa_float_round_mode_32 0
		.amdhsa_float_round_mode_16_64 0
		.amdhsa_float_denorm_mode_32 3
		.amdhsa_float_denorm_mode_16_64 3
		.amdhsa_dx10_clamp 1
		.amdhsa_ieee_mode 1
		.amdhsa_fp16_overflow 0
		.amdhsa_workgroup_processor_mode 1
		.amdhsa_memory_ordered 1
		.amdhsa_forward_progress 0
		.amdhsa_shared_vgpr_count 0
		.amdhsa_exception_fp_ieee_invalid_op 0
		.amdhsa_exception_fp_denorm_src 0
		.amdhsa_exception_fp_ieee_div_zero 0
		.amdhsa_exception_fp_ieee_overflow 0
		.amdhsa_exception_fp_ieee_underflow 0
		.amdhsa_exception_fp_ieee_inexact 0
		.amdhsa_exception_int_div_zero 0
	.end_amdhsa_kernel
	.section	.text._Z26selective_scan_vllm_kernelI18SSMFwdKernelTraitsILi128ELi4ELi8ELb0ELb0ELb0EEEv13SSMParamsBase,"axG",@progbits,_Z26selective_scan_vllm_kernelI18SSMFwdKernelTraitsILi128ELi4ELi8ELb0ELb0ELb0EEEv13SSMParamsBase,comdat
.Lfunc_end8:
	.size	_Z26selective_scan_vllm_kernelI18SSMFwdKernelTraitsILi128ELi4ELi8ELb0ELb0ELb0EEEv13SSMParamsBase, .Lfunc_end8-_Z26selective_scan_vllm_kernelI18SSMFwdKernelTraitsILi128ELi4ELi8ELb0ELb0ELb0EEEv13SSMParamsBase
                                        ; -- End function
	.section	.AMDGPU.csdata,"",@progbits
; Kernel info:
; codeLenInByte = 3664
; NumSgprs: 72
; NumVgprs: 40
; ScratchSize: 48
; MemoryBound: 0
; FloatMode: 240
; IeeeMode: 1
; LDSByteSize: 0 bytes/workgroup (compile time only)
; SGPRBlocks: 8
; VGPRBlocks: 4
; NumSGPRsForWavesPerEU: 72
; NumVGPRsForWavesPerEU: 40
; Occupancy: 16
; WaveLimiterHint : 0
; COMPUTE_PGM_RSRC2:SCRATCH_EN: 1
; COMPUTE_PGM_RSRC2:USER_SGPR: 14
; COMPUTE_PGM_RSRC2:TRAP_HANDLER: 0
; COMPUTE_PGM_RSRC2:TGID_X_EN: 1
; COMPUTE_PGM_RSRC2:TGID_Y_EN: 1
; COMPUTE_PGM_RSRC2:TGID_Z_EN: 0
; COMPUTE_PGM_RSRC2:TIDIG_COMP_CNT: 0
	.text
	.p2alignl 7, 3214868480
	.fill 96, 4, 3214868480
	.type	__hip_cuid_ad318a6054d0d0e7,@object ; @__hip_cuid_ad318a6054d0d0e7
	.section	.bss,"aw",@nobits
	.globl	__hip_cuid_ad318a6054d0d0e7
__hip_cuid_ad318a6054d0d0e7:
	.byte	0                               ; 0x0
	.size	__hip_cuid_ad318a6054d0d0e7, 1

	.ident	"AMD clang version 19.0.0git (https://github.com/RadeonOpenCompute/llvm-project roc-6.4.0 25133 c7fe45cf4b819c5991fe208aaa96edf142730f1d)"
	.section	".note.GNU-stack","",@progbits
	.addrsig
	.addrsig_sym __hip_cuid_ad318a6054d0d0e7
	.amdgpu_metadata
---
amdhsa.kernels:
  - .args:
      - .actual_access:  read_only
        .address_space:  global
        .offset:         0
        .size:           8
        .value_kind:     global_buffer
      - .actual_access:  read_only
        .address_space:  global
        .offset:         8
        .size:           8
        .value_kind:     global_buffer
      - .actual_access:  read_only
        .address_space:  global
        .offset:         16
        .size:           8
        .value_kind:     global_buffer
      - .actual_access:  read_only
        .address_space:  global
        .offset:         24
        .size:           8
        .value_kind:     global_buffer
      - .actual_access:  read_only
        .address_space:  global
        .offset:         32
        .size:           8
        .value_kind:     global_buffer
      - .actual_access:  read_only
        .address_space:  global
        .offset:         40
        .size:           8
        .value_kind:     global_buffer
      - .actual_access:  read_only
        .address_space:  global
        .offset:         48
        .size:           8
        .value_kind:     global_buffer
      - .actual_access:  read_only
        .address_space:  global
        .offset:         56
        .size:           8
        .value_kind:     global_buffer
      - .offset:         64
        .size:           1
        .value_kind:     by_value
      - .offset:         68
        .size:           4
        .value_kind:     by_value
      - .offset:         72
        .size:           4
        .value_kind:     by_value
      - .offset:         76
        .size:           4
        .value_kind:     by_value
      - .offset:         80
        .size:           4
        .value_kind:     by_value
      - .address_space:  global
        .offset:         88
        .size:           8
        .value_kind:     global_buffer
      - .actual_access:  write_only
        .address_space:  global
        .offset:         96
        .size:           8
        .value_kind:     global_buffer
      - .offset:         104
        .size:           4
        .value_kind:     hidden_block_count_x
      - .offset:         108
        .size:           4
        .value_kind:     hidden_block_count_y
      - .offset:         112
        .size:           4
        .value_kind:     hidden_block_count_z
      - .offset:         116
        .size:           2
        .value_kind:     hidden_group_size_x
      - .offset:         118
        .size:           2
        .value_kind:     hidden_group_size_y
      - .offset:         120
        .size:           2
        .value_kind:     hidden_group_size_z
      - .offset:         122
        .size:           2
        .value_kind:     hidden_remainder_x
      - .offset:         124
        .size:           2
        .value_kind:     hidden_remainder_y
      - .offset:         126
        .size:           2
        .value_kind:     hidden_remainder_z
      - .offset:         144
        .size:           8
        .value_kind:     hidden_global_offset_x
      - .offset:         152
        .size:           8
        .value_kind:     hidden_global_offset_y
      - .offset:         160
        .size:           8
        .value_kind:     hidden_global_offset_z
      - .offset:         168
        .size:           2
        .value_kind:     hidden_grid_dims
    .group_segment_fixed_size: 0
    .kernarg_segment_align: 8
    .kernarg_segment_size: 360
    .language:       OpenCL C
    .language_version:
      - 2
      - 0
    .max_flat_workgroup_size: 1024
    .name:           _Z19selective_scan_basePKfS0_S0_S0_S0_S0_S0_S0_biiiiPfS1_
    .private_segment_fixed_size: 0
    .sgpr_count:     34
    .sgpr_spill_count: 0
    .symbol:         _Z19selective_scan_basePKfS0_S0_S0_S0_S0_S0_S0_biiiiPfS1_.kd
    .uniform_work_group_size: 1
    .uses_dynamic_stack: false
    .vgpr_count:     24
    .vgpr_spill_count: 0
    .wavefront_size: 32
    .workgroup_processor_mode: 1
  - .args:
      - .offset:         0
        .size:           144
        .value_kind:     by_value
    .group_segment_fixed_size: 0
    .kernarg_segment_align: 8
    .kernarg_segment_size: 144
    .language:       OpenCL C
    .language_version:
      - 2
      - 0
    .max_flat_workgroup_size: 128
    .name:           _Z26selective_scan_vllm_kernelI18SSMFwdKernelTraitsILi128ELi4ELi8ELb1ELb1ELb1EEEv13SSMParamsBase
    .private_segment_fixed_size: 48
    .sgpr_count:     58
    .sgpr_spill_count: 0
    .symbol:         _Z26selective_scan_vllm_kernelI18SSMFwdKernelTraitsILi128ELi4ELi8ELb1ELb1ELb1EEEv13SSMParamsBase.kd
    .uniform_work_group_size: 1
    .uses_dynamic_stack: false
    .vgpr_count:     43
    .vgpr_spill_count: 0
    .wavefront_size: 32
    .workgroup_processor_mode: 1
  - .args:
      - .offset:         0
        .size:           144
        .value_kind:     by_value
    .group_segment_fixed_size: 0
    .kernarg_segment_align: 8
    .kernarg_segment_size: 144
    .language:       OpenCL C
    .language_version:
      - 2
      - 0
    .max_flat_workgroup_size: 128
    .name:           _Z26selective_scan_vllm_kernelI18SSMFwdKernelTraitsILi128ELi4ELi8ELb1ELb1ELb0EEEv13SSMParamsBase
    .private_segment_fixed_size: 48
    .sgpr_count:     74
    .sgpr_spill_count: 0
    .symbol:         _Z26selective_scan_vllm_kernelI18SSMFwdKernelTraitsILi128ELi4ELi8ELb1ELb1ELb0EEEv13SSMParamsBase.kd
    .uniform_work_group_size: 1
    .uses_dynamic_stack: false
    .vgpr_count:     40
    .vgpr_spill_count: 0
    .wavefront_size: 32
    .workgroup_processor_mode: 1
  - .args:
      - .offset:         0
        .size:           144
        .value_kind:     by_value
    .group_segment_fixed_size: 0
    .kernarg_segment_align: 8
    .kernarg_segment_size: 144
    .language:       OpenCL C
    .language_version:
      - 2
      - 0
    .max_flat_workgroup_size: 128
    .name:           _Z26selective_scan_vllm_kernelI18SSMFwdKernelTraitsILi128ELi4ELi8ELb1ELb0ELb1EEEv13SSMParamsBase
    .private_segment_fixed_size: 48
    .sgpr_count:     58
    .sgpr_spill_count: 0
    .symbol:         _Z26selective_scan_vllm_kernelI18SSMFwdKernelTraitsILi128ELi4ELi8ELb1ELb0ELb1EEEv13SSMParamsBase.kd
    .uniform_work_group_size: 1
    .uses_dynamic_stack: false
    .vgpr_count:     43
    .vgpr_spill_count: 0
    .wavefront_size: 32
    .workgroup_processor_mode: 1
  - .args:
      - .offset:         0
        .size:           144
        .value_kind:     by_value
    .group_segment_fixed_size: 0
    .kernarg_segment_align: 8
    .kernarg_segment_size: 144
    .language:       OpenCL C
    .language_version:
      - 2
      - 0
    .max_flat_workgroup_size: 128
    .name:           _Z26selective_scan_vllm_kernelI18SSMFwdKernelTraitsILi128ELi4ELi8ELb1ELb0ELb0EEEv13SSMParamsBase
    .private_segment_fixed_size: 48
    .sgpr_count:     74
    .sgpr_spill_count: 0
    .symbol:         _Z26selective_scan_vllm_kernelI18SSMFwdKernelTraitsILi128ELi4ELi8ELb1ELb0ELb0EEEv13SSMParamsBase.kd
    .uniform_work_group_size: 1
    .uses_dynamic_stack: false
    .vgpr_count:     40
    .vgpr_spill_count: 0
    .wavefront_size: 32
    .workgroup_processor_mode: 1
  - .args:
      - .offset:         0
        .size:           144
        .value_kind:     by_value
    .group_segment_fixed_size: 0
    .kernarg_segment_align: 8
    .kernarg_segment_size: 144
    .language:       OpenCL C
    .language_version:
      - 2
      - 0
    .max_flat_workgroup_size: 128
    .name:           _Z26selective_scan_vllm_kernelI18SSMFwdKernelTraitsILi128ELi4ELi8ELb0ELb1ELb1EEEv13SSMParamsBase
    .private_segment_fixed_size: 48
    .sgpr_count:     56
    .sgpr_spill_count: 0
    .symbol:         _Z26selective_scan_vllm_kernelI18SSMFwdKernelTraitsILi128ELi4ELi8ELb0ELb1ELb1EEEv13SSMParamsBase.kd
    .uniform_work_group_size: 1
    .uses_dynamic_stack: false
    .vgpr_count:     43
    .vgpr_spill_count: 0
    .wavefront_size: 32
    .workgroup_processor_mode: 1
  - .args:
      - .offset:         0
        .size:           144
        .value_kind:     by_value
    .group_segment_fixed_size: 0
    .kernarg_segment_align: 8
    .kernarg_segment_size: 144
    .language:       OpenCL C
    .language_version:
      - 2
      - 0
    .max_flat_workgroup_size: 128
    .name:           _Z26selective_scan_vllm_kernelI18SSMFwdKernelTraitsILi128ELi4ELi8ELb0ELb1ELb0EEEv13SSMParamsBase
    .private_segment_fixed_size: 48
    .sgpr_count:     72
    .sgpr_spill_count: 0
    .symbol:         _Z26selective_scan_vllm_kernelI18SSMFwdKernelTraitsILi128ELi4ELi8ELb0ELb1ELb0EEEv13SSMParamsBase.kd
    .uniform_work_group_size: 1
    .uses_dynamic_stack: false
    .vgpr_count:     40
    .vgpr_spill_count: 0
    .wavefront_size: 32
    .workgroup_processor_mode: 1
  - .args:
      - .offset:         0
        .size:           144
        .value_kind:     by_value
    .group_segment_fixed_size: 0
    .kernarg_segment_align: 8
    .kernarg_segment_size: 144
    .language:       OpenCL C
    .language_version:
      - 2
      - 0
    .max_flat_workgroup_size: 128
    .name:           _Z26selective_scan_vllm_kernelI18SSMFwdKernelTraitsILi128ELi4ELi8ELb0ELb0ELb1EEEv13SSMParamsBase
    .private_segment_fixed_size: 48
    .sgpr_count:     56
    .sgpr_spill_count: 0
    .symbol:         _Z26selective_scan_vllm_kernelI18SSMFwdKernelTraitsILi128ELi4ELi8ELb0ELb0ELb1EEEv13SSMParamsBase.kd
    .uniform_work_group_size: 1
    .uses_dynamic_stack: false
    .vgpr_count:     43
    .vgpr_spill_count: 0
    .wavefront_size: 32
    .workgroup_processor_mode: 1
  - .args:
      - .offset:         0
        .size:           144
        .value_kind:     by_value
    .group_segment_fixed_size: 0
    .kernarg_segment_align: 8
    .kernarg_segment_size: 144
    .language:       OpenCL C
    .language_version:
      - 2
      - 0
    .max_flat_workgroup_size: 128
    .name:           _Z26selective_scan_vllm_kernelI18SSMFwdKernelTraitsILi128ELi4ELi8ELb0ELb0ELb0EEEv13SSMParamsBase
    .private_segment_fixed_size: 48
    .sgpr_count:     72
    .sgpr_spill_count: 0
    .symbol:         _Z26selective_scan_vllm_kernelI18SSMFwdKernelTraitsILi128ELi4ELi8ELb0ELb0ELb0EEEv13SSMParamsBase.kd
    .uniform_work_group_size: 1
    .uses_dynamic_stack: false
    .vgpr_count:     40
    .vgpr_spill_count: 0
    .wavefront_size: 32
    .workgroup_processor_mode: 1
amdhsa.target:   amdgcn-amd-amdhsa--gfx1100
amdhsa.version:
  - 1
  - 2
...

	.end_amdgpu_metadata
